;; amdgpu-corpus repo=ROCm/rocFFT kind=compiled arch=gfx1201 opt=O3
	.text
	.amdgcn_target "amdgcn-amd-amdhsa--gfx1201"
	.amdhsa_code_object_version 6
	.protected	fft_rtc_fwd_len1560_factors_13_2_2_10_3_wgs_156_tpt_156_dp_op_CI_CI_unitstride_sbrr_R2C_dirReg ; -- Begin function fft_rtc_fwd_len1560_factors_13_2_2_10_3_wgs_156_tpt_156_dp_op_CI_CI_unitstride_sbrr_R2C_dirReg
	.globl	fft_rtc_fwd_len1560_factors_13_2_2_10_3_wgs_156_tpt_156_dp_op_CI_CI_unitstride_sbrr_R2C_dirReg
	.p2align	8
	.type	fft_rtc_fwd_len1560_factors_13_2_2_10_3_wgs_156_tpt_156_dp_op_CI_CI_unitstride_sbrr_R2C_dirReg,@function
fft_rtc_fwd_len1560_factors_13_2_2_10_3_wgs_156_tpt_156_dp_op_CI_CI_unitstride_sbrr_R2C_dirReg: ; @fft_rtc_fwd_len1560_factors_13_2_2_10_3_wgs_156_tpt_156_dp_op_CI_CI_unitstride_sbrr_R2C_dirReg
; %bb.0:
	s_clause 0x2
	s_load_b128 s[8:11], s[0:1], 0x0
	s_load_b128 s[4:7], s[0:1], 0x58
	;; [unrolled: 1-line block ×3, first 2 shown]
	v_mul_u32_u24_e32 v1, 0x1a5, v0
	v_mov_b32_e32 v3, 0
	s_delay_alu instid0(VALU_DEP_2) | instskip(NEXT) | instid1(VALU_DEP_1)
	v_lshrrev_b32_e32 v1, 16, v1
	v_add_nc_u32_e32 v5, ttmp9, v1
	v_mov_b32_e32 v1, 0
	v_mov_b32_e32 v2, 0
	;; [unrolled: 1-line block ×3, first 2 shown]
	s_wait_kmcnt 0x0
	v_cmp_lt_u64_e64 s2, s[10:11], 2
	s_delay_alu instid0(VALU_DEP_1)
	s_and_b32 vcc_lo, exec_lo, s2
	s_cbranch_vccnz .LBB0_8
; %bb.1:
	s_load_b64 s[2:3], s[0:1], 0x10
	v_mov_b32_e32 v1, 0
	v_mov_b32_e32 v2, 0
	s_add_nc_u64 s[16:17], s[14:15], 8
	s_add_nc_u64 s[18:19], s[12:13], 8
	s_mov_b64 s[20:21], 1
	s_delay_alu instid0(VALU_DEP_1)
	v_dual_mov_b32 v61, v2 :: v_dual_mov_b32 v60, v1
	s_wait_kmcnt 0x0
	s_add_nc_u64 s[22:23], s[2:3], 8
	s_mov_b32 s3, 0
.LBB0_2:                                ; =>This Inner Loop Header: Depth=1
	s_load_b64 s[24:25], s[22:23], 0x0
                                        ; implicit-def: $vgpr64_vgpr65
	s_mov_b32 s2, exec_lo
	s_wait_kmcnt 0x0
	v_or_b32_e32 v4, s25, v6
	s_delay_alu instid0(VALU_DEP_1)
	v_cmpx_ne_u64_e32 0, v[3:4]
	s_wait_alu 0xfffe
	s_xor_b32 s26, exec_lo, s2
	s_cbranch_execz .LBB0_4
; %bb.3:                                ;   in Loop: Header=BB0_2 Depth=1
	s_cvt_f32_u32 s2, s24
	s_cvt_f32_u32 s27, s25
	s_sub_nc_u64 s[30:31], 0, s[24:25]
	s_wait_alu 0xfffe
	s_delay_alu instid0(SALU_CYCLE_1) | instskip(SKIP_1) | instid1(SALU_CYCLE_2)
	s_fmamk_f32 s2, s27, 0x4f800000, s2
	s_wait_alu 0xfffe
	v_s_rcp_f32 s2, s2
	s_delay_alu instid0(TRANS32_DEP_1) | instskip(SKIP_1) | instid1(SALU_CYCLE_2)
	s_mul_f32 s2, s2, 0x5f7ffffc
	s_wait_alu 0xfffe
	s_mul_f32 s27, s2, 0x2f800000
	s_wait_alu 0xfffe
	s_delay_alu instid0(SALU_CYCLE_2) | instskip(SKIP_1) | instid1(SALU_CYCLE_2)
	s_trunc_f32 s27, s27
	s_wait_alu 0xfffe
	s_fmamk_f32 s2, s27, 0xcf800000, s2
	s_cvt_u32_f32 s29, s27
	s_wait_alu 0xfffe
	s_delay_alu instid0(SALU_CYCLE_1) | instskip(SKIP_1) | instid1(SALU_CYCLE_2)
	s_cvt_u32_f32 s28, s2
	s_wait_alu 0xfffe
	s_mul_u64 s[34:35], s[30:31], s[28:29]
	s_wait_alu 0xfffe
	s_mul_hi_u32 s37, s28, s35
	s_mul_i32 s36, s28, s35
	s_mul_hi_u32 s2, s28, s34
	s_mul_i32 s33, s29, s34
	s_wait_alu 0xfffe
	s_add_nc_u64 s[36:37], s[2:3], s[36:37]
	s_mul_hi_u32 s27, s29, s34
	s_mul_hi_u32 s38, s29, s35
	s_add_co_u32 s2, s36, s33
	s_wait_alu 0xfffe
	s_add_co_ci_u32 s2, s37, s27
	s_mul_i32 s34, s29, s35
	s_add_co_ci_u32 s35, s38, 0
	s_wait_alu 0xfffe
	s_add_nc_u64 s[34:35], s[2:3], s[34:35]
	s_wait_alu 0xfffe
	v_add_co_u32 v4, s2, s28, s34
	s_delay_alu instid0(VALU_DEP_1) | instskip(SKIP_1) | instid1(VALU_DEP_1)
	s_cmp_lg_u32 s2, 0
	s_add_co_ci_u32 s29, s29, s35
	v_readfirstlane_b32 s28, v4
	s_wait_alu 0xfffe
	s_delay_alu instid0(VALU_DEP_1)
	s_mul_u64 s[30:31], s[30:31], s[28:29]
	s_wait_alu 0xfffe
	s_mul_hi_u32 s35, s28, s31
	s_mul_i32 s34, s28, s31
	s_mul_hi_u32 s2, s28, s30
	s_mul_i32 s33, s29, s30
	s_wait_alu 0xfffe
	s_add_nc_u64 s[34:35], s[2:3], s[34:35]
	s_mul_hi_u32 s27, s29, s30
	s_mul_hi_u32 s28, s29, s31
	s_wait_alu 0xfffe
	s_add_co_u32 s2, s34, s33
	s_add_co_ci_u32 s2, s35, s27
	s_mul_i32 s30, s29, s31
	s_add_co_ci_u32 s31, s28, 0
	s_wait_alu 0xfffe
	s_add_nc_u64 s[30:31], s[2:3], s[30:31]
	s_wait_alu 0xfffe
	v_add_co_u32 v4, s2, v4, s30
	s_delay_alu instid0(VALU_DEP_1) | instskip(SKIP_1) | instid1(VALU_DEP_1)
	s_cmp_lg_u32 s2, 0
	s_add_co_ci_u32 s2, s29, s31
	v_mul_hi_u32 v13, v5, v4
	s_wait_alu 0xfffe
	v_mad_co_u64_u32 v[7:8], null, v5, s2, 0
	v_mad_co_u64_u32 v[9:10], null, v6, v4, 0
	;; [unrolled: 1-line block ×3, first 2 shown]
	s_delay_alu instid0(VALU_DEP_3) | instskip(SKIP_1) | instid1(VALU_DEP_4)
	v_add_co_u32 v4, vcc_lo, v13, v7
	s_wait_alu 0xfffd
	v_add_co_ci_u32_e32 v7, vcc_lo, 0, v8, vcc_lo
	s_delay_alu instid0(VALU_DEP_2) | instskip(SKIP_1) | instid1(VALU_DEP_2)
	v_add_co_u32 v4, vcc_lo, v4, v9
	s_wait_alu 0xfffd
	v_add_co_ci_u32_e32 v4, vcc_lo, v7, v10, vcc_lo
	s_wait_alu 0xfffd
	v_add_co_ci_u32_e32 v7, vcc_lo, 0, v12, vcc_lo
	s_delay_alu instid0(VALU_DEP_2) | instskip(SKIP_1) | instid1(VALU_DEP_2)
	v_add_co_u32 v4, vcc_lo, v4, v11
	s_wait_alu 0xfffd
	v_add_co_ci_u32_e32 v9, vcc_lo, 0, v7, vcc_lo
	s_delay_alu instid0(VALU_DEP_2) | instskip(SKIP_1) | instid1(VALU_DEP_3)
	v_mul_lo_u32 v10, s25, v4
	v_mad_co_u64_u32 v[7:8], null, s24, v4, 0
	v_mul_lo_u32 v11, s24, v9
	s_delay_alu instid0(VALU_DEP_2) | instskip(NEXT) | instid1(VALU_DEP_2)
	v_sub_co_u32 v7, vcc_lo, v5, v7
	v_add3_u32 v8, v8, v11, v10
	s_delay_alu instid0(VALU_DEP_1) | instskip(SKIP_1) | instid1(VALU_DEP_1)
	v_sub_nc_u32_e32 v10, v6, v8
	s_wait_alu 0xfffd
	v_subrev_co_ci_u32_e64 v10, s2, s25, v10, vcc_lo
	v_add_co_u32 v11, s2, v4, 2
	s_wait_alu 0xf1ff
	v_add_co_ci_u32_e64 v12, s2, 0, v9, s2
	v_sub_co_u32 v13, s2, v7, s24
	v_sub_co_ci_u32_e32 v8, vcc_lo, v6, v8, vcc_lo
	s_wait_alu 0xf1ff
	v_subrev_co_ci_u32_e64 v10, s2, 0, v10, s2
	s_delay_alu instid0(VALU_DEP_3) | instskip(NEXT) | instid1(VALU_DEP_3)
	v_cmp_le_u32_e32 vcc_lo, s24, v13
	v_cmp_eq_u32_e64 s2, s25, v8
	s_wait_alu 0xfffd
	v_cndmask_b32_e64 v13, 0, -1, vcc_lo
	v_cmp_le_u32_e32 vcc_lo, s25, v10
	s_wait_alu 0xfffd
	v_cndmask_b32_e64 v14, 0, -1, vcc_lo
	v_cmp_le_u32_e32 vcc_lo, s24, v7
	;; [unrolled: 3-line block ×3, first 2 shown]
	s_wait_alu 0xfffd
	v_cndmask_b32_e64 v15, 0, -1, vcc_lo
	v_cmp_eq_u32_e32 vcc_lo, s25, v10
	s_wait_alu 0xf1ff
	s_delay_alu instid0(VALU_DEP_2)
	v_cndmask_b32_e64 v7, v15, v7, s2
	s_wait_alu 0xfffd
	v_cndmask_b32_e32 v10, v14, v13, vcc_lo
	v_add_co_u32 v13, vcc_lo, v4, 1
	s_wait_alu 0xfffd
	v_add_co_ci_u32_e32 v14, vcc_lo, 0, v9, vcc_lo
	s_delay_alu instid0(VALU_DEP_3) | instskip(SKIP_1) | instid1(VALU_DEP_2)
	v_cmp_ne_u32_e32 vcc_lo, 0, v10
	s_wait_alu 0xfffd
	v_cndmask_b32_e32 v8, v14, v12, vcc_lo
	v_cndmask_b32_e32 v10, v13, v11, vcc_lo
	v_cmp_ne_u32_e32 vcc_lo, 0, v7
	s_wait_alu 0xfffd
	s_delay_alu instid0(VALU_DEP_2)
	v_dual_cndmask_b32 v65, v9, v8 :: v_dual_cndmask_b32 v64, v4, v10
.LBB0_4:                                ;   in Loop: Header=BB0_2 Depth=1
	s_wait_alu 0xfffe
	s_and_not1_saveexec_b32 s2, s26
	s_cbranch_execz .LBB0_6
; %bb.5:                                ;   in Loop: Header=BB0_2 Depth=1
	v_cvt_f32_u32_e32 v4, s24
	s_sub_co_i32 s26, 0, s24
	v_mov_b32_e32 v65, v3
	s_delay_alu instid0(VALU_DEP_2) | instskip(NEXT) | instid1(TRANS32_DEP_1)
	v_rcp_iflag_f32_e32 v4, v4
	v_mul_f32_e32 v4, 0x4f7ffffe, v4
	s_delay_alu instid0(VALU_DEP_1) | instskip(SKIP_1) | instid1(VALU_DEP_1)
	v_cvt_u32_f32_e32 v4, v4
	s_wait_alu 0xfffe
	v_mul_lo_u32 v7, s26, v4
	s_delay_alu instid0(VALU_DEP_1) | instskip(NEXT) | instid1(VALU_DEP_1)
	v_mul_hi_u32 v7, v4, v7
	v_add_nc_u32_e32 v4, v4, v7
	s_delay_alu instid0(VALU_DEP_1) | instskip(NEXT) | instid1(VALU_DEP_1)
	v_mul_hi_u32 v4, v5, v4
	v_mul_lo_u32 v7, v4, s24
	v_add_nc_u32_e32 v8, 1, v4
	s_delay_alu instid0(VALU_DEP_2) | instskip(NEXT) | instid1(VALU_DEP_1)
	v_sub_nc_u32_e32 v7, v5, v7
	v_subrev_nc_u32_e32 v9, s24, v7
	v_cmp_le_u32_e32 vcc_lo, s24, v7
	s_wait_alu 0xfffd
	s_delay_alu instid0(VALU_DEP_2) | instskip(NEXT) | instid1(VALU_DEP_1)
	v_dual_cndmask_b32 v7, v7, v9 :: v_dual_cndmask_b32 v4, v4, v8
	v_cmp_le_u32_e32 vcc_lo, s24, v7
	s_delay_alu instid0(VALU_DEP_2) | instskip(SKIP_1) | instid1(VALU_DEP_1)
	v_add_nc_u32_e32 v8, 1, v4
	s_wait_alu 0xfffd
	v_cndmask_b32_e32 v64, v4, v8, vcc_lo
.LBB0_6:                                ;   in Loop: Header=BB0_2 Depth=1
	s_wait_alu 0xfffe
	s_or_b32 exec_lo, exec_lo, s2
	v_mul_lo_u32 v4, v65, s24
	s_delay_alu instid0(VALU_DEP_2)
	v_mul_lo_u32 v9, v64, s25
	s_load_b64 s[26:27], s[18:19], 0x0
	v_mad_co_u64_u32 v[7:8], null, v64, s24, 0
	s_load_b64 s[24:25], s[16:17], 0x0
	s_add_nc_u64 s[20:21], s[20:21], 1
	s_add_nc_u64 s[16:17], s[16:17], 8
	s_wait_alu 0xfffe
	v_cmp_ge_u64_e64 s2, s[20:21], s[10:11]
	s_add_nc_u64 s[18:19], s[18:19], 8
	s_add_nc_u64 s[22:23], s[22:23], 8
	v_add3_u32 v4, v8, v9, v4
	v_sub_co_u32 v5, vcc_lo, v5, v7
	s_wait_alu 0xfffd
	s_delay_alu instid0(VALU_DEP_2) | instskip(SKIP_2) | instid1(VALU_DEP_1)
	v_sub_co_ci_u32_e32 v4, vcc_lo, v6, v4, vcc_lo
	s_and_b32 vcc_lo, exec_lo, s2
	s_wait_kmcnt 0x0
	v_mul_lo_u32 v6, s26, v4
	v_mul_lo_u32 v7, s27, v5
	v_mad_co_u64_u32 v[1:2], null, s26, v5, v[1:2]
	v_mul_lo_u32 v4, s24, v4
	v_mul_lo_u32 v8, s25, v5
	v_mad_co_u64_u32 v[60:61], null, s24, v5, v[60:61]
	s_delay_alu instid0(VALU_DEP_4) | instskip(NEXT) | instid1(VALU_DEP_2)
	v_add3_u32 v2, v7, v2, v6
	v_add3_u32 v61, v8, v61, v4
	s_wait_alu 0xfffe
	s_cbranch_vccnz .LBB0_9
; %bb.7:                                ;   in Loop: Header=BB0_2 Depth=1
	v_dual_mov_b32 v5, v64 :: v_dual_mov_b32 v6, v65
	s_branch .LBB0_2
.LBB0_8:
	v_dual_mov_b32 v61, v2 :: v_dual_mov_b32 v60, v1
	v_dual_mov_b32 v65, v6 :: v_dual_mov_b32 v64, v5
.LBB0_9:
	s_load_b64 s[0:1], s[0:1], 0x28
	v_mul_hi_u32 v3, 0x1a41a42, v0
                                        ; implicit-def: $vgpr62
	s_wait_kmcnt 0x0
	s_delay_alu instid0(VALU_DEP_2) | instskip(SKIP_1) | instid1(VALU_DEP_1)
	v_cmp_gt_u64_e32 vcc_lo, s[0:1], v[64:65]
	v_cmp_le_u64_e64 s0, s[0:1], v[64:65]
	s_and_saveexec_b32 s1, s0
	s_wait_alu 0xfffe
	s_xor_b32 s0, exec_lo, s1
; %bb.10:
	s_delay_alu instid0(VALU_DEP_3) | instskip(NEXT) | instid1(VALU_DEP_1)
	v_mul_u32_u24_e32 v1, 0x9c, v3
                                        ; implicit-def: $vgpr3
	v_sub_nc_u32_e32 v62, v0, v1
                                        ; implicit-def: $vgpr0
                                        ; implicit-def: $vgpr1_vgpr2
; %bb.11:
	s_wait_alu 0xfffe
	s_or_saveexec_b32 s1, s0
	s_lshl_b64 s[10:11], s[10:11], 3
	s_wait_alu 0xfffe
	s_xor_b32 exec_lo, exec_lo, s1
	s_cbranch_execz .LBB0_13
; %bb.12:
	s_add_nc_u64 s[2:3], s[12:13], s[10:11]
	v_lshlrev_b64_e32 v[1:2], 4, v[1:2]
	s_load_b64 s[2:3], s[2:3], 0x0
	s_wait_kmcnt 0x0
	v_mul_lo_u32 v6, s3, v64
	v_mul_lo_u32 v7, s2, v65
	v_mad_co_u64_u32 v[4:5], null, s2, v64, 0
	s_delay_alu instid0(VALU_DEP_1) | instskip(SKIP_1) | instid1(VALU_DEP_2)
	v_add3_u32 v5, v5, v7, v6
	v_mul_u32_u24_e32 v6, 0x9c, v3
	v_lshlrev_b64_e32 v[3:4], 4, v[4:5]
	s_delay_alu instid0(VALU_DEP_2) | instskip(NEXT) | instid1(VALU_DEP_1)
	v_sub_nc_u32_e32 v62, v0, v6
	v_lshlrev_b32_e32 v40, 4, v62
	s_delay_alu instid0(VALU_DEP_3) | instskip(SKIP_1) | instid1(VALU_DEP_4)
	v_add_co_u32 v0, s0, s4, v3
	s_wait_alu 0xf1ff
	v_add_co_ci_u32_e64 v3, s0, s5, v4, s0
	s_delay_alu instid0(VALU_DEP_2) | instskip(SKIP_1) | instid1(VALU_DEP_2)
	v_add_co_u32 v0, s0, v0, v1
	s_wait_alu 0xf1ff
	v_add_co_ci_u32_e64 v1, s0, v3, v2, s0
	s_delay_alu instid0(VALU_DEP_2) | instskip(SKIP_1) | instid1(VALU_DEP_2)
	v_add_co_u32 v36, s0, v0, v40
	s_wait_alu 0xf1ff
	v_add_co_ci_u32_e64 v37, s0, 0, v1, s0
	s_clause 0x9
	global_load_b128 v[0:3], v[36:37], off
	global_load_b128 v[4:7], v[36:37], off offset:2496
	global_load_b128 v[8:11], v[36:37], off offset:4992
	;; [unrolled: 1-line block ×9, first 2 shown]
	v_add_nc_u32_e32 v40, 0, v40
	s_wait_loadcnt 0x9
	ds_store_b128 v40, v[0:3]
	s_wait_loadcnt 0x8
	ds_store_b128 v40, v[4:7] offset:2496
	s_wait_loadcnt 0x7
	ds_store_b128 v40, v[8:11] offset:4992
	;; [unrolled: 2-line block ×9, first 2 shown]
.LBB0_13:
	s_or_b32 exec_lo, exec_lo, s1
	v_lshl_add_u32 v162, v62, 4, 0
	global_wb scope:SCOPE_SE
	s_wait_dscnt 0x0
	s_barrier_signal -1
	s_barrier_wait -1
	global_inv scope:SCOPE_SE
	ds_load_b128 v[8:11], v162 offset:23040
	ds_load_b128 v[44:47], v162 offset:1920
	ds_load_b128 v[20:23], v162
	ds_load_b128 v[12:15], v162 offset:21120
	ds_load_b128 v[48:51], v162 offset:3840
	s_mov_b32 s2, 0x42a4c3d2
	s_mov_b32 s4, 0x66966769
	;; [unrolled: 1-line block ×4, first 2 shown]
	ds_load_b128 v[52:55], v162 offset:5760
	ds_load_b128 v[16:19], v162 offset:19200
	s_mov_b32 s12, 0x1ea71119
	s_mov_b32 s18, 0x2ef20147
	;; [unrolled: 1-line block ×8, first 2 shown]
	ds_load_b128 v[24:27], v162 offset:17280
	ds_load_b128 v[56:59], v162 offset:7680
	s_mov_b32 s22, 0xb2365da1
	s_mov_b32 s20, 0x93053d00
	s_mov_b32 s23, 0xbfd6b1d8
	s_wait_dscnt 0x7
	v_add_f64_e64 v[98:99], v[46:47], -v[10:11]
	v_add_f64_e64 v[92:93], v[44:45], -v[8:9]
	s_wait_dscnt 0x4
	v_add_f64_e64 v[130:131], v[50:51], -v[14:15]
	v_add_f64_e64 v[84:85], v[48:49], -v[12:13]
	v_add_f64_e32 v[88:89], v[44:45], v[8:9]
	v_add_f64_e32 v[158:159], v[46:47], v[10:11]
	;; [unrolled: 1-line block ×3, first 2 shown]
	s_wait_dscnt 0x2
	v_add_f64_e64 v[152:153], v[54:55], -v[18:19]
	v_add_f64_e64 v[104:105], v[52:53], -v[16:17]
	v_add_f64_e32 v[154:155], v[50:51], v[14:15]
	s_mov_b32 s21, 0xbfef11f4
	s_mov_b32 s25, 0x3fedeba7
	;; [unrolled: 1-line block ×3, first 2 shown]
	v_add_f64_e32 v[100:101], v[52:53], v[16:17]
	v_add_f64_e32 v[156:157], v[54:55], v[18:19]
	ds_load_b128 v[40:43], v162 offset:9600
	ds_load_b128 v[28:31], v162 offset:15360
	s_wait_dscnt 0x2
	v_add_f64_e64 v[90:91], v[58:59], -v[26:27]
	v_add_f64_e64 v[82:83], v[56:57], -v[24:25]
	s_mov_b32 s28, 0x24c2f84
	s_mov_b32 s38, 0x4267c47c
	;; [unrolled: 1-line block ×4, first 2 shown]
	v_add_f64_e32 v[86:87], v[56:57], v[24:25]
	v_add_f64_e32 v[160:161], v[58:59], v[26:27]
	s_mov_b32 s34, 0xd0032e0c
	s_mov_b32 s36, 0xe00740e9
	;; [unrolled: 1-line block ×5, first 2 shown]
	s_wait_alu 0xfffe
	s_mov_b32 s30, s4
	s_mov_b32 s41, 0xbfe5384d
	;; [unrolled: 1-line block ×3, first 2 shown]
	s_add_nc_u64 s[10:11], s[14:15], s[10:11]
	s_mov_b32 s33, exec_lo
	s_wait_dscnt 0x0
	v_add_f64_e64 v[96:97], v[42:43], -v[30:31]
	v_add_f64_e64 v[70:71], v[40:41], -v[28:29]
	v_add_f64_e32 v[78:79], v[40:41], v[28:29]
	v_mul_f64_e32 v[112:113], s[2:3], v[98:99]
	v_mul_f64_e32 v[116:117], s[2:3], v[92:93]
	;; [unrolled: 1-line block ×12, first 2 shown]
	v_add_f64_e32 v[150:151], v[42:43], v[30:31]
	v_mul_f64_e32 v[126:127], s[28:29], v[90:91]
	v_mul_f64_e32 v[128:129], s[28:29], v[82:83]
	;; [unrolled: 1-line block ×4, first 2 shown]
	s_wait_alu 0xfffe
	v_mul_f64_e32 v[134:135], s[30:31], v[96:97]
	v_mul_f64_e32 v[140:141], s[30:31], v[70:71]
	;; [unrolled: 1-line block ×3, first 2 shown]
	v_fma_f64 v[0:1], v[88:89], s[12:13], v[112:113]
	v_fma_f64 v[2:3], v[158:159], s[12:13], -v[116:117]
	v_fma_f64 v[4:5], v[88:89], s[26:27], v[138:139]
	v_fma_f64 v[6:7], v[158:159], s[26:27], -v[142:143]
	;; [unrolled: 2-line block ×6, first 2 shown]
	v_mul_f64_e32 v[148:149], s[2:3], v[70:71]
	v_fma_f64 v[163:164], v[86:87], s[34:35], v[126:127]
	v_fma_f64 v[165:166], v[160:161], s[34:35], -v[128:129]
	v_fma_f64 v[167:168], v[86:87], s[36:37], v[132:133]
	v_fma_f64 v[169:170], v[160:161], s[36:37], -v[146:147]
	;; [unrolled: 2-line block ×3, first 2 shown]
	v_fma_f64 v[175:176], v[78:79], s[12:13], v[144:145]
	v_add_f64_e32 v[0:1], v[20:21], v[0:1]
	v_add_f64_e32 v[2:3], v[22:23], v[2:3]
	;; [unrolled: 1-line block ×4, first 2 shown]
	v_fma_f64 v[177:178], v[150:151], s[12:13], -v[148:149]
	v_add_f64_e32 v[0:1], v[32:33], v[0:1]
	v_add_f64_e32 v[2:3], v[34:35], v[2:3]
	v_add_f64_e32 v[4:5], v[36:37], v[4:5]
	v_add_f64_e32 v[6:7], v[38:39], v[6:7]
	ds_load_b128 v[36:39], v162 offset:11520
	ds_load_b128 v[32:35], v162 offset:13440
	global_wb scope:SCOPE_SE
	s_wait_dscnt 0x0
	s_barrier_signal -1
	s_barrier_wait -1
	global_inv scope:SCOPE_SE
	v_add_f64_e64 v[102:103], v[38:39], -v[34:35]
	v_add_f64_e64 v[66:67], v[36:37], -v[32:33]
	v_add_f64_e32 v[108:109], v[38:39], v[34:35]
	v_add_f64_e32 v[0:1], v[68:69], v[0:1]
	;; [unrolled: 1-line block ×6, first 2 shown]
	v_mul_f64_e32 v[72:73], s[38:39], v[102:103]
	v_mul_f64_e32 v[74:75], s[38:39], v[66:67]
	;; [unrolled: 1-line block ×4, first 2 shown]
	v_add_f64_e32 v[0:1], v[163:164], v[0:1]
	v_add_f64_e32 v[2:3], v[165:166], v[2:3]
	;; [unrolled: 1-line block ×4, first 2 shown]
	v_fma_f64 v[163:164], v[68:69], s[36:37], v[72:73]
	v_fma_f64 v[165:166], v[108:109], s[36:37], -v[74:75]
	v_fma_f64 v[167:168], v[68:69], s[34:35], v[76:77]
	v_fma_f64 v[169:170], v[108:109], s[34:35], -v[80:81]
	v_add_f64_e32 v[0:1], v[171:172], v[0:1]
	v_add_f64_e32 v[2:3], v[173:174], v[2:3]
	;; [unrolled: 1-line block ×4, first 2 shown]
	s_delay_alu instid0(VALU_DEP_4) | instskip(NEXT) | instid1(VALU_DEP_4)
	v_add_f64_e32 v[4:5], v[163:164], v[0:1]
	v_add_f64_e32 v[6:7], v[165:166], v[2:3]
	s_delay_alu instid0(VALU_DEP_4) | instskip(NEXT) | instid1(VALU_DEP_4)
	v_add_f64_e32 v[0:1], v[167:168], v[171:172]
	v_add_f64_e32 v[2:3], v[169:170], v[173:174]
	v_cmpx_gt_u32_e32 0x78, v62
	s_cbranch_execz .LBB0_15
; %bb.14:
	v_add_f64_e32 v[46:47], v[22:23], v[46:47]
	v_add_f64_e32 v[44:45], v[20:21], v[44:45]
	v_mul_f64_e32 v[163:164], s[26:27], v[158:159]
	v_mul_f64_e32 v[165:166], s[22:23], v[158:159]
	;; [unrolled: 1-line block ×5, first 2 shown]
	s_mov_b32 s15, 0xbfddbe06
	s_mov_b32 s14, s38
	v_mul_f64_e32 v[185:186], s[20:21], v[94:95]
	v_mul_f64_e32 v[169:170], s[18:19], v[98:99]
	;; [unrolled: 1-line block ×4, first 2 shown]
	s_mov_b32 s1, 0x3fcea1e5
	s_mov_b32 s0, s16
	v_mul_f64_e32 v[179:180], s[22:23], v[156:157]
	v_mul_f64_e32 v[181:182], s[20:21], v[154:155]
	;; [unrolled: 1-line block ×22, first 2 shown]
	s_mov_b32 s43, 0x3fea55e2
	v_add_f64_e32 v[46:47], v[46:47], v[50:51]
	v_add_f64_e32 v[44:45], v[44:45], v[48:49]
	v_mul_f64_e32 v[50:51], s[16:17], v[98:99]
	v_mul_f64_e32 v[48:49], s[20:21], v[158:159]
	v_add_f64_e32 v[142:143], v[142:143], v[163:164]
	v_add_f64_e64 v[138:139], v[167:168], -v[138:139]
	v_add_f64_e32 v[116:117], v[116:117], v[173:174]
	v_fma_f64 v[173:174], v[92:93], s[24:25], v[165:166]
	v_fma_f64 v[165:166], v[92:93], s[18:19], v[165:166]
	v_add_f64_e64 v[112:113], v[171:172], -v[112:113]
	v_add_f64_e64 v[114:115], v[185:186], -v[114:115]
	v_add_f64_e32 v[140:141], v[140:141], v[187:188]
	v_fma_f64 v[187:188], v[88:89], s[22:23], v[169:170]
	v_fma_f64 v[169:170], v[88:89], s[22:23], -v[169:170]
	v_add_f64_e64 v[106:107], v[201:202], -v[106:107]
	s_mov_b32 s42, s2
	v_add_f64_e32 v[122:123], v[122:123], v[181:182]
	v_add_f64_e32 v[128:129], v[128:129], v[189:190]
	;; [unrolled: 1-line block ×4, first 2 shown]
	v_add_f64_e64 v[126:127], v[195:196], -v[126:127]
	v_add_f64_e64 v[134:135], v[197:198], -v[134:135]
	;; [unrolled: 1-line block ×3, first 2 shown]
	v_fma_f64 v[189:190], v[104:105], s[28:29], v[209:210]
	v_fma_f64 v[191:192], v[104:105], s[40:41], v[209:210]
	;; [unrolled: 1-line block ×9, first 2 shown]
	v_fma_f64 v[219:220], v[100:101], s[34:35], -v[221:222]
	v_mul_f64_e32 v[225:226], s[38:39], v[152:153]
	v_mul_f64_e32 v[152:153], s[4:5], v[152:153]
	;; [unrolled: 1-line block ×5, first 2 shown]
	v_add_f64_e32 v[46:47], v[46:47], v[54:55]
	v_add_f64_e32 v[44:45], v[44:45], v[52:53]
	v_mul_f64_e32 v[52:53], s[34:35], v[158:159]
	v_mul_f64_e32 v[54:55], s[40:41], v[98:99]
	;; [unrolled: 1-line block ×4, first 2 shown]
	s_wait_alu 0xfffe
	v_fma_f64 v[163:164], v[92:93], s[0:1], v[48:49]
	v_fma_f64 v[48:49], v[92:93], s[16:17], v[48:49]
	v_add_f64_e32 v[165:166], v[22:23], v[165:166]
	v_add_f64_e32 v[142:143], v[22:23], v[142:143]
	;; [unrolled: 1-line block ×8, first 2 shown]
	v_mul_f64_e32 v[205:206], s[20:21], v[160:161]
	v_mul_f64_e32 v[207:208], s[26:27], v[160:161]
	;; [unrolled: 1-line block ×5, first 2 shown]
	v_add_f64_e32 v[136:137], v[136:137], v[179:180]
	v_mul_f64_e32 v[183:184], s[12:13], v[78:79]
	v_mul_f64_e32 v[237:238], s[22:23], v[150:151]
	;; [unrolled: 1-line block ×4, first 2 shown]
	v_add_f64_e32 v[148:149], v[148:149], v[175:176]
	v_mul_f64_e32 v[175:176], s[38:39], v[96:97]
	v_add_f64_e32 v[146:147], v[146:147], v[177:178]
	v_add_f64_e32 v[46:47], v[46:47], v[58:59]
	;; [unrolled: 1-line block ×3, first 2 shown]
	v_mul_f64_e32 v[58:59], s[22:23], v[100:101]
	v_fma_f64 v[167:168], v[92:93], s[28:29], v[52:53]
	v_fma_f64 v[52:53], v[92:93], s[40:41], v[52:53]
	;; [unrolled: 1-line block ×3, first 2 shown]
	v_fma_f64 v[54:55], v[88:89], s[34:35], -v[54:55]
	v_fma_f64 v[171:172], v[92:93], s[38:39], v[158:159]
	v_fma_f64 v[92:93], v[92:93], s[14:15], v[158:159]
	;; [unrolled: 1-line block ×3, first 2 shown]
	v_add_f64_e32 v[163:164], v[22:23], v[163:164]
	v_add_f64_e32 v[48:49], v[22:23], v[48:49]
	v_add_f64_e32 v[165:166], v[213:214], v[165:166]
	v_add_f64_e32 v[122:123], v[122:123], v[142:143]
	v_add_f64_e32 v[110:111], v[110:111], v[116:117]
	v_add_f64_e32 v[106:107], v[106:107], v[112:113]
	v_mul_f64_e32 v[56:57], s[36:37], v[86:87]
	v_add_f64_e32 v[112:113], v[114:115], v[138:139]
	v_add_f64_e32 v[116:117], v[211:212], v[173:174]
	v_mul_f64_e32 v[158:159], s[18:19], v[96:97]
	v_mul_f64_e32 v[177:178], s[40:41], v[96:97]
	;; [unrolled: 1-line block ×3, first 2 shown]
	v_add_f64_e64 v[144:145], v[183:184], -v[144:145]
	v_mul_f64_e32 v[183:184], s[36:37], v[68:69]
	v_fma_f64 v[173:174], v[70:71], s[18:19], v[237:238]
	v_add_f64_e32 v[42:43], v[46:47], v[42:43]
	v_add_f64_e32 v[40:41], v[44:45], v[40:41]
	v_add_f64_e64 v[58:59], v[58:59], -v[124:125]
	v_fma_f64 v[124:125], v[88:89], s[20:21], v[50:51]
	v_fma_f64 v[50:51], v[88:89], s[20:21], -v[50:51]
	v_fma_f64 v[88:89], v[88:89], s[36:37], -v[98:99]
	v_fma_f64 v[98:99], v[104:105], s[30:31], v[156:157]
	v_fma_f64 v[104:105], v[104:105], s[4:5], v[156:157]
	;; [unrolled: 1-line block ×4, first 2 shown]
	v_add_f64_e32 v[167:168], v[22:23], v[167:168]
	v_add_f64_e32 v[52:53], v[22:23], v[52:53]
	;; [unrolled: 1-line block ×7, first 2 shown]
	v_fma_f64 v[201:202], v[100:101], s[12:13], -v[223:224]
	v_add_f64_e32 v[48:49], v[209:210], v[48:49]
	v_mul_f64_e32 v[44:45], s[36:37], v[150:151]
	v_mul_f64_e32 v[46:47], s[20:21], v[150:151]
	v_add_f64_e32 v[122:123], v[136:137], v[122:123]
	v_add_f64_e32 v[110:111], v[120:121], v[110:111]
	;; [unrolled: 1-line block ×3, first 2 shown]
	v_add_f64_e64 v[56:57], v[56:57], -v[132:133]
	v_mul_f64_e32 v[150:151], s[34:35], v[150:151]
	v_mul_f64_e32 v[209:210], s[34:35], v[108:109]
	v_fma_f64 v[118:119], v[78:79], s[36:37], -v[175:176]
	v_fma_f64 v[120:121], v[78:79], s[34:35], v[177:178]
	v_mul_f64_e32 v[132:133], s[22:23], v[108:109]
	v_add_f64_e64 v[72:73], v[183:184], -v[72:73]
	v_fma_f64 v[136:137], v[66:67], s[4:5], v[179:180]
	v_add_f64_e32 v[38:39], v[42:43], v[38:39]
	v_add_f64_e32 v[36:37], v[40:41], v[36:37]
	v_fma_f64 v[40:41], v[84:85], s[4:5], v[217:218]
	v_fma_f64 v[42:43], v[84:85], s[30:31], v[217:218]
	;; [unrolled: 1-line block ×5, first 2 shown]
	v_add_f64_e32 v[124:125], v[20:21], v[124:125]
	v_fma_f64 v[221:222], v[94:95], s[36:37], -v[227:228]
	v_fma_f64 v[227:228], v[94:95], s[26:27], v[229:230]
	v_fma_f64 v[229:230], v[94:95], s[26:27], -v[229:230]
	v_add_f64_e32 v[50:51], v[20:21], v[50:51]
	v_add_f64_e32 v[20:21], v[20:21], v[88:89]
	v_fma_f64 v[88:89], v[100:101], s[12:13], v[223:224]
	v_fma_f64 v[223:224], v[94:95], s[34:35], -v[231:232]
	v_fma_f64 v[231:232], v[94:95], s[34:35], v[231:232]
	v_add_f64_e32 v[156:157], v[156:157], v[163:164]
	v_add_f64_e32 v[142:143], v[215:216], v[171:172]
	;; [unrolled: 1-line block ×4, first 2 shown]
	v_mul_f64_e32 v[163:164], s[34:35], v[68:69]
	v_fma_f64 v[171:172], v[70:71], s[24:25], v[237:238]
	v_add_f64_e32 v[106:107], v[126:127], v[106:107]
	v_add_f64_e32 v[80:81], v[80:81], v[209:210]
	;; [unrolled: 1-line block ×3, first 2 shown]
	v_fma_f64 v[38:39], v[94:95], s[12:13], -v[130:131]
	v_add_f64_e32 v[32:33], v[36:37], v[32:33]
	v_fma_f64 v[94:95], v[94:95], s[12:13], v[130:131]
	v_add_f64_e32 v[40:41], v[40:41], v[167:168]
	v_mul_f64_e32 v[167:168], s[42:43], v[90:91]
	v_mul_f64_e32 v[90:91], s[0:1], v[90:91]
	v_add_f64_e32 v[124:125], v[217:218], v[124:125]
	v_add_f64_e32 v[42:43], v[42:43], v[52:53]
	v_fma_f64 v[36:37], v[100:101], s[36:37], v[225:226]
	v_add_f64_e32 v[54:55], v[229:230], v[54:55]
	v_fma_f64 v[225:226], v[100:101], s[36:37], -v[225:226]
	v_add_f64_e32 v[185:186], v[227:228], v[185:186]
	v_add_f64_e32 v[50:51], v[221:222], v[50:51]
	;; [unrolled: 1-line block ×4, first 2 shown]
	v_fma_f64 v[130:131], v[100:101], s[26:27], v[152:153]
	v_fma_f64 v[100:101], v[100:101], s[26:27], -v[152:153]
	v_add_f64_e32 v[22:23], v[84:85], v[22:23]
	v_fma_f64 v[52:53], v[82:83], s[2:3], v[203:204]
	v_fma_f64 v[203:204], v[82:83], s[42:43], v[203:204]
	;; [unrolled: 1-line block ×5, first 2 shown]
	v_fma_f64 v[169:170], v[86:87], s[22:23], -v[235:236]
	v_add_f64_e32 v[98:99], v[98:99], v[142:143]
	v_mul_f64_e32 v[221:222], s[36:37], v[108:109]
	v_fma_f64 v[187:188], v[70:71], s[14:15], v[44:45]
	v_fma_f64 v[44:45], v[70:71], s[38:39], v[44:45]
	v_mul_f64_e32 v[217:218], s[12:13], v[108:109]
	v_add_f64_e32 v[56:57], v[56:57], v[58:59]
	v_mul_f64_e32 v[152:153], s[18:19], v[102:103]
	v_mul_f64_e32 v[108:109], s[20:21], v[108:109]
	;; [unrolled: 1-line block ×4, first 2 shown]
	v_add_f64_e64 v[76:77], v[163:164], -v[76:77]
	v_fma_f64 v[142:143], v[66:67], s[30:31], v[179:180]
	v_add_f64_e32 v[30:31], v[34:35], v[30:31]
	v_add_f64_e32 v[20:21], v[38:39], v[20:21]
	;; [unrolled: 1-line block ×4, first 2 shown]
	v_fma_f64 v[34:35], v[82:83], s[30:31], v[207:208]
	v_fma_f64 v[38:39], v[82:83], s[4:5], v[207:208]
	v_fma_f64 v[82:83], v[82:83], s[18:19], v[160:161]
	v_fma_f64 v[92:93], v[86:87], s[26:27], v[233:234]
	v_fma_f64 v[94:95], v[86:87], s[26:27], -v[233:234]
	v_fma_f64 v[160:161], v[86:87], s[22:23], v[235:236]
	v_fma_f64 v[207:208], v[86:87], s[12:13], v[167:168]
	v_fma_f64 v[167:168], v[86:87], s[12:13], -v[167:168]
	v_fma_f64 v[211:212], v[86:87], s[20:21], v[90:91]
	v_fma_f64 v[86:87], v[86:87], s[20:21], -v[90:91]
	v_add_f64_e32 v[124:125], v[154:155], v[124:125]
	v_add_f64_e32 v[42:43], v[195:196], v[42:43]
	;; [unrolled: 1-line block ×12, first 2 shown]
	v_fma_f64 v[104:105], v[78:79], s[22:23], -v[158:159]
	v_fma_f64 v[116:117], v[78:79], s[36:37], v[175:176]
	v_fma_f64 v[156:157], v[78:79], s[20:21], v[96:97]
	v_add_f64_e32 v[48:49], v[203:204], v[48:49]
	v_add_f64_e32 v[84:85], v[84:85], v[98:99]
	;; [unrolled: 1-line block ×3, first 2 shown]
	v_fma_f64 v[98:99], v[66:67], s[42:43], v[217:218]
	v_add_f64_e32 v[56:57], v[144:145], v[56:57]
	v_fma_f64 v[138:139], v[68:69], s[26:27], v[181:182]
	v_add_f64_e32 v[26:27], v[30:31], v[26:27]
	v_add_f64_e32 v[20:21], v[100:101], v[20:21]
	v_add_f64_e32 v[24:25], v[28:29], v[24:25]
	v_add_f64_e32 v[28:29], v[130:131], v[32:33]
	v_fma_f64 v[32:33], v[70:71], s[0:1], v[46:47]
	v_fma_f64 v[100:101], v[78:79], s[22:23], v[158:159]
	v_fma_f64 v[130:131], v[78:79], s[34:35], -v[177:178]
	v_fma_f64 v[78:79], v[78:79], s[20:21], -v[96:97]
	v_add_f64_e32 v[96:97], v[128:129], v[110:111]
	v_fma_f64 v[30:31], v[70:71], s[16:17], v[46:47]
	v_fma_f64 v[46:47], v[70:71], s[28:29], v[150:151]
	;; [unrolled: 1-line block ×3, first 2 shown]
	v_fma_f64 v[150:151], v[68:69], s[26:27], -v[181:182]
	v_fma_f64 v[110:111], v[66:67], s[0:1], v[108:109]
	v_add_f64_e32 v[42:43], v[205:206], v[42:43]
	v_add_f64_e32 v[54:55], v[86:87], v[54:55]
	v_add_f64_e32 v[38:39], v[38:39], v[154:155]
	v_add_f64_e32 v[86:87], v[146:147], v[122:123]
	v_add_f64_e32 v[88:89], v[211:212], v[88:89]
	v_add_f64_e32 v[58:59], v[94:95], v[112:113]
	v_add_f64_e32 v[40:41], v[229:230], v[40:41]
	v_add_f64_e32 v[50:51], v[167:168], v[50:51]
	v_add_f64_e32 v[52:53], v[52:53], v[90:91]
	v_add_f64_e32 v[90:91], v[207:208], v[124:125]
	v_add_f64_e32 v[34:35], v[34:35], v[114:115]
	v_add_f64_e32 v[36:37], v[92:93], v[36:37]
	v_add_f64_e32 v[22:23], v[82:83], v[22:23]
	v_fma_f64 v[82:83], v[66:67], s[18:19], v[132:133]
	v_fma_f64 v[92:93], v[68:69], s[22:23], -v[152:153]
	v_fma_f64 v[94:95], v[66:67], s[2:3], v[217:218]
	v_fma_f64 v[112:113], v[68:69], s[20:21], v[227:228]
	v_fma_f64 v[114:115], v[68:69], s[12:13], v[102:103]
	v_add_f64_e32 v[48:49], v[173:174], v[48:49]
	v_add_f64_e32 v[18:19], v[26:27], v[18:19]
	;; [unrolled: 1-line block ×5, first 2 shown]
	v_fma_f64 v[26:27], v[66:67], s[24:25], v[132:133]
	v_fma_f64 v[28:29], v[68:69], s[22:23], v[152:153]
	;; [unrolled: 1-line block ×3, first 2 shown]
	v_fma_f64 v[108:109], v[68:69], s[20:21], -v[227:228]
	v_fma_f64 v[68:69], v[68:69], s[12:13], -v[102:103]
	v_add_f64_e32 v[46:47], v[46:47], v[84:85]
	v_add_f64_e32 v[42:43], v[44:45], v[42:43]
	;; [unrolled: 1-line block ×38, first 2 shown]
	v_mad_u32_u24 v52, 0xc0, v62, v162
	v_add_f64_e32 v[10:11], v[100:101], v[10:11]
	v_add_f64_e32 v[48:49], v[108:109], v[84:85]
	;; [unrolled: 1-line block ×4, first 2 shown]
	ds_store_b128 v52, v[0:3] offset:160
	ds_store_b128 v52, v[4:7] offset:176
	;; [unrolled: 1-line block ×11, first 2 shown]
	ds_store_b128 v52, v[8:11]
	ds_store_b128 v52, v[44:47] offset:192
.LBB0_15:
	s_or_b32 exec_lo, exec_lo, s33
	v_add_nc_u32_e32 v52, 0x9c, v62
	v_add_nc_u32_e32 v51, 0x138, v62
	v_and_b32_e32 v8, 0xff, v62
	v_add_nc_u32_e32 v50, 0x1d4, v62
	v_add_nc_u32_e32 v49, 0x270, v62
	v_and_b32_e32 v9, 0xffff, v52
	v_and_b32_e32 v10, 0xffff, v51
	v_mul_lo_u16 v8, 0x4f, v8
	v_and_b32_e32 v11, 0xffff, v50
	s_load_b64 s[2:3], s[10:11], 0x0
	v_mul_u32_u24_e32 v59, 0x4ec5, v9
	v_and_b32_e32 v9, 0xffff, v49
	v_mul_u32_u24_e32 v63, 0x4ec5, v10
	v_lshrrev_b16 v74, 10, v8
	v_mul_u32_u24_e32 v75, 0x4ec5, v11
	v_lshrrev_b32_e32 v76, 18, v59
	v_mul_u32_u24_e32 v77, 0x4ec5, v9
	v_lshrrev_b32_e32 v78, 18, v63
	v_mul_lo_u16 v9, v74, 13
	v_lshrrev_b32_e32 v79, 18, v75
	v_mul_lo_u16 v10, v76, 13
	;; [unrolled: 2-line block ×3, first 2 shown]
	v_sub_nc_u16 v9, v62, v9
	v_mul_lo_u16 v12, v79, 13
	v_sub_nc_u16 v10, v52, v10
	v_mul_lo_u16 v13, v80, 13
	v_sub_nc_u16 v11, v51, v11
	v_and_b32_e32 v9, 0xff, v9
	v_sub_nc_u16 v12, v50, v12
	v_and_b32_e32 v10, 0xffff, v10
	;; [unrolled: 2-line block ×3, first 2 shown]
	v_lshlrev_b32_e32 v81, 4, v9
	v_and_b32_e32 v14, 0xffff, v12
	v_lshlrev_b32_e32 v82, 4, v10
	v_and_b32_e32 v17, 0xffff, v13
	global_wb scope:SCOPE_SE
	s_wait_dscnt 0x0
	s_wait_kmcnt 0x0
	s_barrier_signal -1
	s_barrier_wait -1
	global_inv scope:SCOPE_SE
	v_lshlrev_b32_e32 v83, 4, v11
	global_load_b128 v[9:12], v81, s[8:9]
	v_lshlrev_b32_e32 v84, 4, v14
	global_load_b128 v[13:16], v82, s[8:9]
	v_lshlrev_b32_e32 v85, 4, v17
	s_clause 0x2
	global_load_b128 v[17:20], v83, s[8:9]
	global_load_b128 v[21:24], v84, s[8:9]
	;; [unrolled: 1-line block ×3, first 2 shown]
	ds_load_b128 v[29:32], v162 offset:12480
	ds_load_b128 v[33:36], v162 offset:14976
	;; [unrolled: 1-line block ×6, first 2 shown]
	v_lshrrev_b16 v86, 11, v8
	v_lshrrev_b32_e32 v59, 19, v59
	v_lshrrev_b32_e32 v63, 19, v63
	s_mov_b32 s4, 0x134454ff
	s_mov_b32 s5, 0x3fee6f0e
	;; [unrolled: 1-line block ×3, first 2 shown]
	s_wait_alu 0xfffe
	s_mov_b32 s0, s4
	s_mov_b32 s12, 0x4755a5e
	;; [unrolled: 1-line block ×4, first 2 shown]
	s_wait_alu 0xfffe
	s_mov_b32 s10, s12
	s_mov_b32 s14, 0x372fe950
	;; [unrolled: 1-line block ×5, first 2 shown]
	s_wait_loadcnt_dscnt 0x405
	v_mul_f64_e32 v[57:58], v[31:32], v[11:12]
	v_mul_f64_e32 v[11:12], v[29:30], v[11:12]
	s_wait_loadcnt_dscnt 0x304
	v_mul_f64_e32 v[66:67], v[35:36], v[15:16]
	v_mul_f64_e32 v[15:16], v[33:34], v[15:16]
	;; [unrolled: 3-line block ×5, first 2 shown]
	v_fma_f64 v[29:30], v[29:30], v[9:10], -v[57:58]
	v_fma_f64 v[31:32], v[31:32], v[9:10], v[11:12]
	v_fma_f64 v[33:34], v[33:34], v[13:14], -v[66:67]
	v_fma_f64 v[35:36], v[35:36], v[13:14], v[15:16]
	;; [unrolled: 2-line block ×5, first 2 shown]
	ds_load_b128 v[9:12], v162
	ds_load_b128 v[13:16], v162 offset:2496
	ds_load_b128 v[17:20], v162 offset:4992
	;; [unrolled: 1-line block ×3, first 2 shown]
	v_mul_lo_u16 v57, v86, 26
	v_mul_lo_u16 v67, v63, 26
	v_mul_u32_u24_e32 v66, 0x1a0, v76
	global_wb scope:SCOPE_SE
	s_wait_dscnt 0x0
	s_barrier_signal -1
	s_barrier_wait -1
	v_sub_nc_u16 v67, v51, v67
	global_inv scope:SCOPE_SE
	v_add_f64_e64 v[25:26], v[9:10], -v[29:30]
	v_add_f64_e64 v[27:28], v[11:12], -v[31:32]
	v_add_f64_e64 v[29:30], v[13:14], -v[33:34]
	v_add_f64_e64 v[31:32], v[15:16], -v[35:36]
	v_add_f64_e64 v[33:34], v[17:18], -v[37:38]
	v_add_f64_e64 v[35:36], v[19:20], -v[39:40]
	v_add_f64_e64 v[37:38], v[21:22], -v[41:42]
	v_add_f64_e64 v[39:40], v[23:24], -v[43:44]
	v_add_f64_e64 v[41:42], v[53:54], -v[45:46]
	v_add_f64_e64 v[43:44], v[55:56], -v[47:48]
	v_and_b32_e32 v45, 0xffff, v74
	v_lshrrev_b32_e32 v74, 19, v75
	v_lshrrev_b32_e32 v75, 19, v77
	s_delay_alu instid0(VALU_DEP_3) | instskip(NEXT) | instid1(VALU_DEP_3)
	v_mul_u32_u24_e32 v58, 0x1a0, v45
	v_mul_lo_u16 v68, v74, 26
	s_delay_alu instid0(VALU_DEP_3) | instskip(NEXT) | instid1(VALU_DEP_3)
	v_mul_lo_u16 v69, v75, 26
	v_add3_u32 v58, 0, v58, v81
	s_delay_alu instid0(VALU_DEP_3) | instskip(NEXT) | instid1(VALU_DEP_3)
	v_sub_nc_u16 v68, v50, v68
	v_sub_nc_u16 v49, v49, v69
	s_delay_alu instid0(VALU_DEP_1) | instskip(NEXT) | instid1(VALU_DEP_1)
	v_and_b32_e32 v49, 0xffff, v49
	v_lshlrev_b32_e32 v49, 4, v49
	v_fma_f64 v[9:10], v[9:10], 2.0, -v[25:26]
	v_fma_f64 v[11:12], v[11:12], 2.0, -v[27:28]
	;; [unrolled: 1-line block ×10, first 2 shown]
	v_sub_nc_u16 v56, v62, v57
	v_mul_lo_u16 v57, v59, 26
	v_mul_u32_u24_e32 v53, 0x1a0, v78
	v_mul_u32_u24_e32 v54, 0x1a0, v79
	;; [unrolled: 1-line block ×3, first 2 shown]
	v_and_b32_e32 v56, 0xff, v56
	v_sub_nc_u16 v57, v52, v57
	v_add3_u32 v53, 0, v53, v83
	v_add3_u32 v54, 0, v54, v84
	;; [unrolled: 1-line block ×3, first 2 shown]
	v_lshlrev_b32_e32 v76, 4, v56
	v_and_b32_e32 v56, 0xffff, v57
	v_and_b32_e32 v57, 0xffff, v67
	;; [unrolled: 1-line block ×3, first 2 shown]
	s_delay_alu instid0(VALU_DEP_3) | instskip(SKIP_1) | instid1(VALU_DEP_4)
	v_lshlrev_b32_e32 v77, 4, v56
	v_add3_u32 v56, 0, v66, v82
	v_lshlrev_b32_e32 v78, 4, v57
	s_delay_alu instid0(VALU_DEP_4)
	v_lshlrev_b32_e32 v79, 4, v67
	ds_store_b128 v58, v[9:12]
	ds_store_b128 v58, v[25:28] offset:208
	ds_store_b128 v56, v[13:16]
	ds_store_b128 v56, v[29:32] offset:208
	ds_store_b128 v53, v[17:20]
	ds_store_b128 v53, v[33:36] offset:208
	ds_store_b128 v54, v[21:24]
	ds_store_b128 v54, v[37:40] offset:208
	ds_store_b128 v55, v[45:48]
	ds_store_b128 v55, v[41:44] offset:208
	global_wb scope:SCOPE_SE
	s_wait_dscnt 0x0
	s_barrier_signal -1
	s_barrier_wait -1
	global_inv scope:SCOPE_SE
	s_clause 0x4
	global_load_b128 v[9:12], v76, s[8:9] offset:208
	global_load_b128 v[13:16], v77, s[8:9] offset:208
	;; [unrolled: 1-line block ×5, first 2 shown]
	ds_load_b128 v[29:32], v162 offset:12480
	ds_load_b128 v[33:36], v162 offset:14976
	;; [unrolled: 1-line block ×6, first 2 shown]
	s_wait_loadcnt_dscnt 0x203
	v_mul_f64_e32 v[68:69], v[39:40], v[19:20]
	v_mul_f64_e32 v[57:58], v[31:32], v[11:12]
	;; [unrolled: 1-line block ×6, first 2 shown]
	s_wait_loadcnt_dscnt 0x102
	v_mul_f64_e32 v[70:71], v[43:44], v[23:24]
	v_mul_f64_e32 v[23:24], v[41:42], v[23:24]
	s_wait_loadcnt_dscnt 0x1
	v_mul_f64_e32 v[72:73], v[47:48], v[27:28]
	v_mul_f64_e32 v[27:28], v[45:46], v[27:28]
	v_fma_f64 v[37:38], v[37:38], v[17:18], -v[68:69]
	v_fma_f64 v[29:30], v[29:30], v[9:10], -v[57:58]
	v_fma_f64 v[9:10], v[31:32], v[9:10], v[11:12]
	v_fma_f64 v[11:12], v[33:34], v[13:14], -v[66:67]
	v_fma_f64 v[35:36], v[35:36], v[13:14], v[15:16]
	v_fma_f64 v[39:40], v[39:40], v[17:18], v[19:20]
	v_fma_f64 v[41:42], v[41:42], v[21:22], -v[70:71]
	v_fma_f64 v[43:44], v[43:44], v[21:22], v[23:24]
	v_fma_f64 v[45:46], v[45:46], v[25:26], -v[72:73]
	v_fma_f64 v[47:48], v[47:48], v[25:26], v[27:28]
	ds_load_b128 v[13:16], v162
	ds_load_b128 v[17:20], v162 offset:2496
	ds_load_b128 v[21:24], v162 offset:4992
	ds_load_b128 v[25:28], v162 offset:7488
	v_mul_u32_u24_e32 v57, 0x340, v63
	v_mul_u32_u24_e32 v58, 0x340, v74
	global_wb scope:SCOPE_SE
	s_wait_dscnt 0x0
	s_barrier_signal -1
	s_barrier_wait -1
	global_inv scope:SCOPE_SE
	v_add_f64_e64 v[37:38], v[21:22], -v[37:38]
	v_add_f64_e64 v[29:30], v[13:14], -v[29:30]
	;; [unrolled: 1-line block ×10, first 2 shown]
	v_lshrrev_b16 v12, 12, v8
	v_fma_f64 v[8:9], v[13:14], 2.0, -v[29:30]
	v_fma_f64 v[10:11], v[15:16], 2.0, -v[31:32]
	;; [unrolled: 1-line block ×10, first 2 shown]
	v_mul_lo_u16 v13, v12, 52
	v_and_b32_e32 v26, 0xffff, v86
	v_mul_u32_u24_e32 v27, 0x340, v59
	v_mul_u32_u24_e32 v59, 0x340, v75
	v_and_b32_e32 v12, 0xffff, v12
	v_sub_nc_u16 v13, v62, v13
	v_mul_u32_u24_e32 v26, 0x340, v26
	v_add3_u32 v27, 0, v27, v77
	v_add3_u32 v49, 0, v59, v49
	v_mul_u32_u24_e32 v12, 0x2080, v12
	v_and_b32_e32 v13, 0xff, v13
	v_add3_u32 v26, 0, v26, v76
	s_delay_alu instid0(VALU_DEP_2) | instskip(SKIP_1) | instid1(VALU_DEP_2)
	v_mul_u32_u24_e32 v28, 9, v13
	v_lshlrev_b32_e32 v13, 4, v13
	v_lshlrev_b32_e32 v63, 4, v28
	v_add3_u32 v28, 0, v57, v78
	v_add3_u32 v57, 0, v58, v79
	ds_store_b128 v26, v[8:11]
	ds_store_b128 v26, v[29:32] offset:416
	ds_store_b128 v27, v[14:17]
	ds_store_b128 v27, v[33:36] offset:416
	;; [unrolled: 2-line block ×5, first 2 shown]
	global_wb scope:SCOPE_SE
	s_wait_dscnt 0x0
	s_barrier_signal -1
	s_barrier_wait -1
	global_inv scope:SCOPE_SE
	s_clause 0x8
	global_load_b128 v[8:11], v63, s[8:9] offset:656
	global_load_b128 v[14:17], v63, s[8:9] offset:688
	;; [unrolled: 1-line block ×9, first 2 shown]
	ds_load_b128 v[46:49], v162 offset:7488
	ds_load_b128 v[53:56], v162 offset:12480
	ds_load_b128 v[66:69], v162 offset:17472
	ds_load_b128 v[70:73], v162 offset:22464
	ds_load_b128 v[74:77], v162 offset:2496
	ds_load_b128 v[78:81], v162 offset:4992
	v_add3_u32 v12, 0, v12, v13
	s_wait_loadcnt_dscnt 0x805
	v_mul_f64_e32 v[57:58], v[48:49], v[10:11]
	s_wait_loadcnt_dscnt 0x704
	v_mul_f64_e32 v[82:83], v[55:56], v[16:17]
	v_mul_f64_e32 v[16:17], v[53:54], v[16:17]
	s_wait_loadcnt_dscnt 0x603
	v_mul_f64_e32 v[84:85], v[66:67], v[20:21]
	s_wait_loadcnt_dscnt 0x502
	v_mul_f64_e32 v[86:87], v[70:71], v[24:25]
	v_mul_f64_e32 v[24:25], v[72:73], v[24:25]
	;; [unrolled: 1-line block ×4, first 2 shown]
	s_wait_loadcnt_dscnt 0x401
	v_mul_f64_e32 v[88:89], v[76:77], v[28:29]
	v_mul_f64_e32 v[28:29], v[74:75], v[28:29]
	v_fma_f64 v[46:47], v[46:47], v[8:9], -v[57:58]
	v_fma_f64 v[53:54], v[53:54], v[14:15], -v[82:83]
	v_fma_f64 v[55:56], v[55:56], v[14:15], v[16:17]
	v_fma_f64 v[57:58], v[68:69], v[18:19], v[84:85]
	;; [unrolled: 1-line block ×3, first 2 shown]
	v_fma_f64 v[22:23], v[70:71], v[22:23], -v[24:25]
	v_fma_f64 v[24:25], v[66:67], v[18:19], -v[20:21]
	v_fma_f64 v[48:49], v[48:49], v[8:9], v[10:11]
	ds_load_b128 v[8:11], v162 offset:9984
	ds_load_b128 v[14:17], v162 offset:14976
	;; [unrolled: 1-line block ×3, first 2 shown]
	s_wait_loadcnt_dscnt 0x303
	v_mul_f64_e32 v[66:67], v[80:81], v[32:33]
	v_mul_f64_e32 v[32:33], v[78:79], v[32:33]
	v_fma_f64 v[74:75], v[74:75], v[26:27], -v[88:89]
	v_fma_f64 v[26:27], v[76:77], v[26:27], v[28:29]
	s_wait_loadcnt_dscnt 0x202
	v_mul_f64_e32 v[70:71], v[10:11], v[36:37]
	v_mul_f64_e32 v[36:37], v[8:9], v[36:37]
	s_wait_loadcnt_dscnt 0x101
	v_mul_f64_e32 v[72:73], v[16:17], v[40:41]
	s_wait_loadcnt_dscnt 0x0
	v_mul_f64_e32 v[82:83], v[20:21], v[44:45]
	v_mul_f64_e32 v[40:41], v[14:15], v[40:41]
	v_mul_f64_e32 v[44:45], v[18:19], v[44:45]
	v_add_f64_e64 v[88:89], v[53:54], -v[46:47]
	v_add_f64_e32 v[28:29], v[55:56], v[57:58]
	v_add_f64_e64 v[94:95], v[68:69], -v[57:58]
	v_add_f64_e32 v[84:85], v[46:47], v[22:23]
	v_add_f64_e32 v[86:87], v[53:54], v[24:25]
	;; [unrolled: 1-line block ×3, first 2 shown]
	v_add_f64_e64 v[90:91], v[24:25], -v[22:23]
	v_fma_f64 v[66:67], v[78:79], v[30:31], -v[66:67]
	v_fma_f64 v[30:31], v[80:81], v[30:31], v[32:33]
	v_add_f64_e64 v[92:93], v[48:49], -v[55:56]
	v_add_f64_e64 v[96:97], v[55:56], -v[48:49]
	;; [unrolled: 1-line block ×3, first 2 shown]
	v_fma_f64 v[32:33], v[8:9], v[34:35], -v[70:71]
	v_fma_f64 v[34:35], v[10:11], v[34:35], v[36:37]
	v_fma_f64 v[14:15], v[14:15], v[38:39], -v[72:73]
	v_fma_f64 v[18:19], v[18:19], v[42:43], -v[82:83]
	v_fma_f64 v[16:17], v[16:17], v[38:39], v[40:41]
	v_add_f64_e64 v[36:37], v[48:49], -v[68:69]
	v_add_f64_e64 v[40:41], v[46:47], -v[22:23]
	v_fma_f64 v[20:21], v[20:21], v[42:43], v[44:45]
	v_add_f64_e64 v[38:39], v[55:56], -v[57:58]
	v_add_f64_e64 v[42:43], v[53:54], -v[24:25]
	ds_load_b128 v[8:11], v162
	global_wb scope:SCOPE_SE
	s_wait_dscnt 0x0
	s_barrier_signal -1
	s_barrier_wait -1
	global_inv scope:SCOPE_SE
	v_fma_f64 v[28:29], v[28:29], -0.5, v[26:27]
	v_fma_f64 v[70:71], v[84:85], -0.5, v[74:75]
	;; [unrolled: 1-line block ×4, first 2 shown]
	v_add_f64_e64 v[84:85], v[46:47], -v[53:54]
	v_add_f64_e64 v[86:87], v[22:23], -v[24:25]
	v_add_f64_e32 v[46:47], v[74:75], v[46:47]
	v_add_f64_e32 v[26:27], v[26:27], v[48:49]
	;; [unrolled: 1-line block ×7, first 2 shown]
	v_add_f64_e64 v[112:113], v[34:35], -v[16:17]
	v_add_f64_e64 v[116:117], v[66:67], -v[18:19]
	v_add_f64_e32 v[82:83], v[30:31], v[20:21]
	v_add_f64_e64 v[110:111], v[30:31], -v[20:21]
	v_add_f64_e64 v[118:119], v[32:33], -v[14:15]
	v_fma_f64 v[100:101], v[40:41], s[0:1], v[28:29]
	v_fma_f64 v[28:29], v[40:41], s[4:5], v[28:29]
	;; [unrolled: 1-line block ×8, first 2 shown]
	v_add_f64_e32 v[46:47], v[46:47], v[53:54]
	v_add_f64_e32 v[26:27], v[26:27], v[55:56]
	v_fma_f64 v[48:49], v[76:77], -0.5, v[8:9]
	v_fma_f64 v[8:9], v[78:79], -0.5, v[8:9]
	;; [unrolled: 1-line block ×3, first 2 shown]
	v_add_f64_e32 v[76:77], v[84:85], v[86:87]
	v_add_f64_e32 v[78:79], v[88:89], v[90:91]
	v_add_f64_e32 v[80:81], v[92:93], v[94:95]
	v_fma_f64 v[10:11], v[82:83], -0.5, v[10:11]
	v_add_f64_e32 v[82:83], v[96:97], v[98:99]
	v_add_f64_e64 v[92:93], v[20:21], -v[16:17]
	v_add_f64_e64 v[94:95], v[16:17], -v[20:21]
	s_wait_alu 0xfffe
	v_fma_f64 v[84:85], v[42:43], s[10:11], v[100:101]
	v_fma_f64 v[28:29], v[42:43], s[12:13], v[28:29]
	;; [unrolled: 1-line block ×8, first 2 shown]
	v_add_f64_e64 v[42:43], v[66:67], -v[32:33]
	v_add_f64_e64 v[66:67], v[32:33], -v[66:67]
	;; [unrolled: 1-line block ×4, first 2 shown]
	v_add_f64_e32 v[32:33], v[108:109], v[32:33]
	v_add_f64_e32 v[34:35], v[114:115], v[34:35]
	v_add_f64_e64 v[44:45], v[18:19], -v[14:15]
	v_add_f64_e64 v[70:71], v[14:15], -v[18:19]
	v_add_f64_e32 v[24:25], v[46:47], v[24:25]
	v_add_f64_e32 v[26:27], v[26:27], v[57:58]
	v_fma_f64 v[53:54], v[110:111], s[4:5], v[48:49]
	v_fma_f64 v[48:49], v[110:111], s[0:1], v[48:49]
	;; [unrolled: 1-line block ×16, first 2 shown]
	v_add_f64_e32 v[30:31], v[30:31], v[94:95]
	v_add_f64_e32 v[14:15], v[32:33], v[14:15]
	;; [unrolled: 1-line block ×8, first 2 shown]
	v_fma_f64 v[32:33], v[112:113], s[12:13], v[53:54]
	v_fma_f64 v[34:35], v[112:113], s[10:11], v[48:49]
	;; [unrolled: 1-line block ×8, first 2 shown]
	v_mul_f64_e32 v[57:58], s[12:13], v[84:85]
	v_mul_f64_e32 v[82:83], s[16:17], v[28:29]
	;; [unrolled: 1-line block ×8, first 2 shown]
	v_add_f64_e32 v[18:19], v[14:15], v[18:19]
	v_add_f64_e32 v[20:21], v[16:17], v[20:21]
	v_fma_f64 v[68:69], v[42:43], s[14:15], v[32:33]
	v_fma_f64 v[92:93], v[42:43], s[14:15], v[34:35]
	;; [unrolled: 1-line block ×9, first 2 shown]
	v_fma_f64 v[40:41], v[40:41], s[4:5], -v[72:73]
	v_fma_f64 v[55:56], v[28:29], s[12:13], -v[74:75]
	v_fma_f64 v[57:58], v[84:85], s[16:17], v[76:77]
	v_fma_f64 v[46:47], v[36:37], s[14:15], v[70:71]
	v_fma_f64 v[66:67], v[86:87], s[14:15], v[78:79]
	v_fma_f64 v[70:71], v[88:89], s[0:1], -v[80:81]
	v_fma_f64 v[72:73], v[90:91], s[10:11], -v[82:83]
	v_cmp_gt_u32_e64 s0, 52, v62
	v_add_f64_e32 v[14:15], v[18:19], v[22:23]
	v_add_f64_e32 v[16:17], v[20:21], v[24:25]
	v_add_f64_e64 v[18:19], v[18:19], -v[22:23]
	v_add_f64_e64 v[20:21], v[20:21], -v[24:25]
	v_add_f64_e32 v[22:23], v[68:69], v[38:39]
	v_add_f64_e64 v[38:39], v[68:69], -v[38:39]
	v_add_f64_e32 v[30:31], v[8:9], v[40:41]
	v_add_f64_e32 v[34:35], v[92:93], v[55:56]
	;; [unrolled: 1-line block ×7, first 2 shown]
	v_add_f64_e64 v[42:43], v[42:43], -v[46:47]
	v_add_f64_e64 v[46:47], v[8:9], -v[40:41]
	;; [unrolled: 1-line block ×7, first 2 shown]
	ds_store_b128 v12, v[14:17]
	ds_store_b128 v12, v[22:25] offset:832
	ds_store_b128 v12, v[26:29] offset:1664
	ds_store_b128 v12, v[30:33] offset:2496
	ds_store_b128 v12, v[34:37] offset:3328
	ds_store_b128 v12, v[18:21] offset:4160
	ds_store_b128 v12, v[38:41] offset:4992
	ds_store_b128 v12, v[42:45] offset:5824
	ds_store_b128 v12, v[46:49] offset:6656
	ds_store_b128 v12, v[8:11] offset:7488
	global_wb scope:SCOPE_SE
	s_wait_dscnt 0x0
	s_barrier_signal -1
	s_barrier_wait -1
	global_inv scope:SCOPE_SE
	ds_load_b128 v[20:23], v162
	ds_load_b128 v[12:15], v162 offset:2496
	ds_load_b128 v[36:39], v162 offset:16640
	;; [unrolled: 1-line block ×8, first 2 shown]
	s_and_saveexec_b32 s1, s0
	s_cbranch_execz .LBB0_17
; %bb.16:
	ds_load_b128 v[8:11], v162 offset:7488
	ds_load_b128 v[0:3], v162 offset:15808
	ds_load_b128 v[4:7], v162 offset:24128
.LBB0_17:
	s_wait_alu 0xfffe
	s_or_b32 exec_lo, exec_lo, s1
	v_dual_mov_b32 v49, 0 :: v_dual_lshlrev_b32 v48, 1, v62
	s_mov_b32 s4, 0xe8584caa
	s_mov_b32 s5, 0x3febb67a
	;; [unrolled: 1-line block ×3, first 2 shown]
	s_wait_alu 0xfffe
	s_mov_b32 s10, s4
	v_lshlrev_b64_e32 v[53:54], 4, v[48:49]
	v_lshlrev_b32_e32 v48, 1, v52
	s_delay_alu instid0(VALU_DEP_1) | instskip(SKIP_1) | instid1(VALU_DEP_4)
	v_lshlrev_b64_e32 v[66:67], 4, v[48:49]
	v_lshlrev_b32_e32 v48, 1, v51
	v_add_co_u32 v55, s1, s8, v53
	s_wait_alu 0xf1ff
	v_add_co_ci_u32_e64 v56, s1, s9, v54, s1
	s_delay_alu instid0(VALU_DEP_3)
	v_lshlrev_b64_e32 v[68:69], 4, v[48:49]
	v_add_co_u32 v70, s1, s8, v66
	s_wait_alu 0xf1ff
	v_add_co_ci_u32_e64 v71, s1, s9, v67, s1
	s_clause 0x1
	global_load_b128 v[51:54], v[55:56], off offset:8128
	global_load_b128 v[55:58], v[55:56], off offset:8112
	v_add_co_u32 v78, s1, s8, v68
	s_wait_alu 0xf1ff
	v_add_co_ci_u32_e64 v79, s1, s9, v69, s1
	s_clause 0x3
	global_load_b128 v[66:69], v[70:71], off offset:8112
	global_load_b128 v[70:73], v[70:71], off offset:8128
	;; [unrolled: 1-line block ×4, first 2 shown]
	global_wb scope:SCOPE_SE
	s_wait_loadcnt_dscnt 0x0
	s_barrier_signal -1
	s_barrier_wait -1
	global_inv scope:SCOPE_SE
	v_mul_f64_e32 v[84:85], v[38:39], v[53:54]
	v_mul_f64_e32 v[82:83], v[46:47], v[57:58]
	v_mul_f64_e32 v[57:58], v[44:45], v[57:58]
	v_mul_f64_e32 v[53:54], v[36:37], v[53:54]
	v_mul_f64_e32 v[86:87], v[42:43], v[68:69]
	v_mul_f64_e32 v[88:89], v[26:27], v[72:73]
	v_mul_f64_e32 v[68:69], v[40:41], v[68:69]
	v_mul_f64_e32 v[72:73], v[24:25], v[72:73]
	v_mul_f64_e32 v[90:91], v[30:31], v[76:77]
	v_mul_f64_e32 v[92:93], v[34:35], v[80:81]
	v_mul_f64_e32 v[76:77], v[28:29], v[76:77]
	v_mul_f64_e32 v[80:81], v[32:33], v[80:81]
	v_fma_f64 v[36:37], v[36:37], v[51:52], -v[84:85]
	v_fma_f64 v[44:45], v[44:45], v[55:56], -v[82:83]
	v_fma_f64 v[46:47], v[46:47], v[55:56], v[57:58]
	v_fma_f64 v[38:39], v[38:39], v[51:52], v[53:54]
	v_fma_f64 v[40:41], v[40:41], v[66:67], -v[86:87]
	v_fma_f64 v[24:25], v[24:25], v[70:71], -v[88:89]
	v_fma_f64 v[42:43], v[42:43], v[66:67], v[68:69]
	v_fma_f64 v[26:27], v[26:27], v[70:71], v[72:73]
	;; [unrolled: 4-line block ×3, first 2 shown]
	v_add_f64_e32 v[51:52], v[44:45], v[36:37]
	v_add_f64_e32 v[70:71], v[20:21], v[44:45]
	;; [unrolled: 1-line block ×3, first 2 shown]
	v_add_f64_e64 v[72:73], v[46:47], -v[38:39]
	v_add_f64_e32 v[55:56], v[40:41], v[24:25]
	v_add_f64_e32 v[46:47], v[22:23], v[46:47]
	;; [unrolled: 1-line block ×7, first 2 shown]
	v_add_f64_e64 v[44:45], v[44:45], -v[36:37]
	v_add_f64_e32 v[78:79], v[16:17], v[28:29]
	v_add_f64_e32 v[80:81], v[18:19], v[30:31]
	v_add_f64_e64 v[42:43], v[42:43], -v[26:27]
	v_add_f64_e64 v[40:41], v[40:41], -v[24:25]
	;; [unrolled: 1-line block ×4, first 2 shown]
	v_fma_f64 v[51:52], v[51:52], -0.5, v[20:21]
	v_fma_f64 v[53:54], v[53:54], -0.5, v[22:23]
	v_fma_f64 v[55:56], v[55:56], -0.5, v[12:13]
	v_add_f64_e32 v[12:13], v[70:71], v[36:37]
	v_fma_f64 v[57:58], v[57:58], -0.5, v[14:15]
	v_add_f64_e32 v[14:15], v[46:47], v[38:39]
	v_fma_f64 v[66:67], v[66:67], -0.5, v[16:17]
	;; [unrolled: 2-line block ×3, first 2 shown]
	v_add_f64_e32 v[18:19], v[76:77], v[26:27]
	v_add_f64_e32 v[20:21], v[78:79], v[32:33]
	;; [unrolled: 1-line block ×3, first 2 shown]
	v_fma_f64 v[24:25], v[72:73], s[4:5], v[51:52]
	s_wait_alu 0xfffe
	v_fma_f64 v[28:29], v[72:73], s[10:11], v[51:52]
	v_fma_f64 v[26:27], v[44:45], s[10:11], v[53:54]
	;; [unrolled: 1-line block ×11, first 2 shown]
	ds_store_b128 v162, v[12:15]
	ds_store_b128 v162, v[16:19] offset:2496
	ds_store_b128 v162, v[24:27] offset:8320
	;; [unrolled: 1-line block ×8, first 2 shown]
	s_and_saveexec_b32 s1, s0
	s_cbranch_execz .LBB0_19
; %bb.18:
	v_subrev_nc_u32_e32 v12, 52, v62
	s_delay_alu instid0(VALU_DEP_1) | instskip(NEXT) | instid1(VALU_DEP_1)
	v_cndmask_b32_e64 v12, v12, v50, s0
	v_lshlrev_b32_e32 v48, 1, v12
	s_delay_alu instid0(VALU_DEP_1) | instskip(NEXT) | instid1(VALU_DEP_1)
	v_lshlrev_b64_e32 v[12:13], 4, v[48:49]
	v_add_co_u32 v16, s0, s8, v12
	s_wait_alu 0xf1ff
	s_delay_alu instid0(VALU_DEP_2)
	v_add_co_ci_u32_e64 v17, s0, s9, v13, s0
	s_clause 0x1
	global_load_b128 v[12:15], v[16:17], off offset:8112
	global_load_b128 v[16:19], v[16:17], off offset:8128
	s_wait_loadcnt 0x1
	v_mul_f64_e32 v[20:21], v[0:1], v[14:15]
	s_wait_loadcnt 0x0
	v_mul_f64_e32 v[22:23], v[4:5], v[18:19]
	v_mul_f64_e32 v[14:15], v[2:3], v[14:15]
	v_mul_f64_e32 v[18:19], v[6:7], v[18:19]
	s_delay_alu instid0(VALU_DEP_4) | instskip(NEXT) | instid1(VALU_DEP_4)
	v_fma_f64 v[2:3], v[2:3], v[12:13], v[20:21]
	v_fma_f64 v[6:7], v[6:7], v[16:17], v[22:23]
	s_delay_alu instid0(VALU_DEP_4) | instskip(NEXT) | instid1(VALU_DEP_4)
	v_fma_f64 v[0:1], v[0:1], v[12:13], -v[14:15]
	v_fma_f64 v[4:5], v[4:5], v[16:17], -v[18:19]
	s_delay_alu instid0(VALU_DEP_4) | instskip(NEXT) | instid1(VALU_DEP_4)
	v_add_f64_e32 v[18:19], v[10:11], v[2:3]
	v_add_f64_e32 v[12:13], v[2:3], v[6:7]
	s_delay_alu instid0(VALU_DEP_3) | instskip(SKIP_2) | instid1(VALU_DEP_4)
	v_add_f64_e32 v[14:15], v[0:1], v[4:5]
	v_add_f64_e64 v[16:17], v[0:1], -v[4:5]
	v_add_f64_e32 v[0:1], v[8:9], v[0:1]
	v_fma_f64 v[10:11], v[12:13], -0.5, v[10:11]
	v_add_f64_e64 v[12:13], v[2:3], -v[6:7]
	v_fma_f64 v[14:15], v[14:15], -0.5, v[8:9]
	v_add_f64_e32 v[2:3], v[18:19], v[6:7]
	v_add_f64_e32 v[0:1], v[0:1], v[4:5]
	v_fma_f64 v[6:7], v[16:17], s[4:5], v[10:11]
	v_fma_f64 v[10:11], v[16:17], s[10:11], v[10:11]
	;; [unrolled: 1-line block ×4, first 2 shown]
	ds_store_b128 v162, v[0:3] offset:7488
	ds_store_b128 v162, v[8:11] offset:15808
	;; [unrolled: 1-line block ×3, first 2 shown]
.LBB0_19:
	s_wait_alu 0xfffe
	s_or_b32 exec_lo, exec_lo, s1
	global_wb scope:SCOPE_SE
	s_wait_dscnt 0x0
	s_barrier_signal -1
	s_barrier_wait -1
	global_inv scope:SCOPE_SE
	ds_load_b128 v[4:7], v162
	v_lshlrev_b32_e32 v0, 4, v62
	s_mov_b32 s1, exec_lo
                                        ; implicit-def: $vgpr8_vgpr9
                                        ; implicit-def: $vgpr10_vgpr11
                                        ; implicit-def: $vgpr12_vgpr13
	s_delay_alu instid0(VALU_DEP_1)
	v_sub_nc_u32_e32 v14, 0, v0
                                        ; implicit-def: $vgpr0_vgpr1
	v_cmpx_ne_u32_e32 0, v62
	s_wait_alu 0xfffe
	s_xor_b32 s1, exec_lo, s1
	s_cbranch_execz .LBB0_21
; %bb.20:
	v_mov_b32_e32 v63, 0
	s_delay_alu instid0(VALU_DEP_1) | instskip(NEXT) | instid1(VALU_DEP_1)
	v_lshlrev_b64_e32 v[0:1], 4, v[62:63]
	v_add_co_u32 v0, s0, s8, v0
	s_wait_alu 0xf1ff
	s_delay_alu instid0(VALU_DEP_2)
	v_add_co_ci_u32_e64 v1, s0, s9, v1, s0
	global_load_b128 v[15:18], v[0:1], off offset:24752
	ds_load_b128 v[0:3], v14 offset:24960
	s_wait_dscnt 0x0
	v_add_f64_e64 v[8:9], v[4:5], -v[0:1]
	v_add_f64_e32 v[10:11], v[6:7], v[2:3]
	v_add_f64_e64 v[2:3], v[6:7], -v[2:3]
	v_add_f64_e32 v[0:1], v[4:5], v[0:1]
	s_delay_alu instid0(VALU_DEP_4) | instskip(NEXT) | instid1(VALU_DEP_4)
	v_mul_f64_e32 v[6:7], 0.5, v[8:9]
	v_mul_f64_e32 v[4:5], 0.5, v[10:11]
	s_delay_alu instid0(VALU_DEP_4) | instskip(SKIP_1) | instid1(VALU_DEP_3)
	v_mul_f64_e32 v[2:3], 0.5, v[2:3]
	s_wait_loadcnt 0x0
	v_mul_f64_e32 v[8:9], v[6:7], v[17:18]
	s_delay_alu instid0(VALU_DEP_2) | instskip(SKIP_1) | instid1(VALU_DEP_3)
	v_fma_f64 v[10:11], v[4:5], v[17:18], v[2:3]
	v_fma_f64 v[2:3], v[4:5], v[17:18], -v[2:3]
	v_fma_f64 v[12:13], v[0:1], 0.5, v[8:9]
	v_fma_f64 v[0:1], v[0:1], 0.5, -v[8:9]
	s_delay_alu instid0(VALU_DEP_4) | instskip(NEXT) | instid1(VALU_DEP_4)
	v_fma_f64 v[10:11], -v[15:16], v[6:7], v[10:11]
	v_fma_f64 v[2:3], -v[15:16], v[6:7], v[2:3]
	s_delay_alu instid0(VALU_DEP_4) | instskip(NEXT) | instid1(VALU_DEP_4)
	v_fma_f64 v[8:9], v[4:5], v[15:16], v[12:13]
	v_fma_f64 v[0:1], -v[4:5], v[15:16], v[0:1]
	v_dual_mov_b32 v12, v62 :: v_dual_mov_b32 v13, v63
                                        ; implicit-def: $vgpr4_vgpr5
.LBB0_21:
	s_wait_alu 0xfffe
	s_and_not1_saveexec_b32 s0, s1
	s_cbranch_execz .LBB0_23
; %bb.22:
	s_wait_dscnt 0x0
	v_add_f64_e32 v[8:9], v[4:5], v[6:7]
	v_add_f64_e64 v[0:1], v[4:5], -v[6:7]
	v_mov_b32_e32 v6, 0
	v_mov_b32_e32 v10, 0
	v_dual_mov_b32 v11, 0 :: v_dual_mov_b32 v12, 0
	s_delay_alu instid0(VALU_DEP_2)
	v_mov_b32_e32 v2, v10
	ds_load_b64 v[4:5], v6 offset:12488
	v_mov_b32_e32 v13, 0
	v_mov_b32_e32 v3, v11
	s_wait_dscnt 0x0
	v_xor_b32_e32 v5, 0x80000000, v5
	ds_store_b64 v6, v[4:5] offset:12488
.LBB0_23:
	s_wait_alu 0xfffe
	s_or_b32 exec_lo, exec_lo, s0
	s_wait_dscnt 0x0
	v_lshlrev_b64_e32 v[4:5], 4, v[12:13]
	s_add_nc_u64 s[0:1], s[8:9], 0x60b0
	s_wait_alu 0xfffe
	s_delay_alu instid0(VALU_DEP_1) | instskip(SKIP_1) | instid1(VALU_DEP_2)
	v_add_co_u32 v12, s0, s0, v4
	s_wait_alu 0xf1ff
	v_add_co_ci_u32_e64 v13, s0, s1, v5, s0
	s_clause 0x1
	global_load_b128 v[4:7], v[12:13], off offset:2496
	global_load_b128 v[15:18], v[12:13], off offset:4992
	ds_store_2addr_b64 v162, v[8:9], v[10:11] offset1:1
	ds_store_b128 v14, v[0:3] offset:24960
	ds_load_b128 v[0:3], v162 offset:2496
	ds_load_b128 v[8:11], v14 offset:22464
	s_wait_dscnt 0x0
	v_add_f64_e64 v[19:20], v[0:1], -v[8:9]
	v_add_f64_e32 v[21:22], v[2:3], v[10:11]
	v_add_f64_e64 v[2:3], v[2:3], -v[10:11]
	v_add_f64_e32 v[0:1], v[0:1], v[8:9]
	s_delay_alu instid0(VALU_DEP_4) | instskip(NEXT) | instid1(VALU_DEP_4)
	v_mul_f64_e32 v[10:11], 0.5, v[19:20]
	v_mul_f64_e32 v[19:20], 0.5, v[21:22]
	s_delay_alu instid0(VALU_DEP_4) | instskip(SKIP_1) | instid1(VALU_DEP_3)
	v_mul_f64_e32 v[2:3], 0.5, v[2:3]
	s_wait_loadcnt 0x1
	v_mul_f64_e32 v[8:9], v[10:11], v[6:7]
	s_delay_alu instid0(VALU_DEP_2) | instskip(SKIP_1) | instid1(VALU_DEP_3)
	v_fma_f64 v[21:22], v[19:20], v[6:7], v[2:3]
	v_fma_f64 v[2:3], v[19:20], v[6:7], -v[2:3]
	v_fma_f64 v[6:7], v[0:1], 0.5, v[8:9]
	v_fma_f64 v[0:1], v[0:1], 0.5, -v[8:9]
	s_delay_alu instid0(VALU_DEP_4) | instskip(NEXT) | instid1(VALU_DEP_4)
	v_fma_f64 v[8:9], -v[4:5], v[10:11], v[21:22]
	v_fma_f64 v[2:3], -v[4:5], v[10:11], v[2:3]
	s_delay_alu instid0(VALU_DEP_4) | instskip(NEXT) | instid1(VALU_DEP_4)
	v_fma_f64 v[10:11], v[19:20], v[4:5], v[6:7]
	v_fma_f64 v[0:1], -v[19:20], v[4:5], v[0:1]
	global_load_b128 v[4:7], v[12:13], off offset:7488
	v_add_nc_u32_e32 v19, 0x800, v162
	ds_store_2addr_b64 v19, v[10:11], v[8:9] offset0:56 offset1:57
	ds_store_b128 v14, v[0:3] offset:22464
	ds_load_b128 v[0:3], v162 offset:4992
	ds_load_b128 v[8:11], v14 offset:19968
	s_wait_dscnt 0x0
	v_add_f64_e64 v[19:20], v[0:1], -v[8:9]
	v_add_f64_e32 v[21:22], v[2:3], v[10:11]
	v_add_f64_e64 v[2:3], v[2:3], -v[10:11]
	v_add_f64_e32 v[0:1], v[0:1], v[8:9]
	s_delay_alu instid0(VALU_DEP_4) | instskip(NEXT) | instid1(VALU_DEP_4)
	v_mul_f64_e32 v[10:11], 0.5, v[19:20]
	v_mul_f64_e32 v[19:20], 0.5, v[21:22]
	s_delay_alu instid0(VALU_DEP_4) | instskip(SKIP_1) | instid1(VALU_DEP_3)
	v_mul_f64_e32 v[2:3], 0.5, v[2:3]
	s_wait_loadcnt 0x1
	v_mul_f64_e32 v[8:9], v[10:11], v[17:18]
	s_delay_alu instid0(VALU_DEP_2) | instskip(SKIP_1) | instid1(VALU_DEP_3)
	v_fma_f64 v[21:22], v[19:20], v[17:18], v[2:3]
	v_fma_f64 v[2:3], v[19:20], v[17:18], -v[2:3]
	v_fma_f64 v[17:18], v[0:1], 0.5, v[8:9]
	v_fma_f64 v[0:1], v[0:1], 0.5, -v[8:9]
	s_delay_alu instid0(VALU_DEP_4) | instskip(NEXT) | instid1(VALU_DEP_4)
	v_fma_f64 v[21:22], -v[15:16], v[10:11], v[21:22]
	v_fma_f64 v[2:3], -v[15:16], v[10:11], v[2:3]
	global_load_b128 v[8:11], v[12:13], off offset:9984
	v_add_nc_u32_e32 v12, 0x1000, v162
	v_fma_f64 v[17:18], v[19:20], v[15:16], v[17:18]
	v_fma_f64 v[0:1], -v[19:20], v[15:16], v[0:1]
	ds_store_2addr_b64 v12, v[17:18], v[21:22] offset0:112 offset1:113
	ds_store_b128 v14, v[0:3] offset:19968
	ds_load_b128 v[0:3], v162 offset:7488
	ds_load_b128 v[15:18], v14 offset:17472
	s_wait_dscnt 0x0
	v_add_f64_e64 v[12:13], v[0:1], -v[15:16]
	v_add_f64_e32 v[19:20], v[2:3], v[17:18]
	v_add_f64_e64 v[2:3], v[2:3], -v[17:18]
	v_add_f64_e32 v[0:1], v[0:1], v[15:16]
	s_delay_alu instid0(VALU_DEP_4) | instskip(NEXT) | instid1(VALU_DEP_4)
	v_mul_f64_e32 v[12:13], 0.5, v[12:13]
	v_mul_f64_e32 v[17:18], 0.5, v[19:20]
	s_delay_alu instid0(VALU_DEP_4) | instskip(SKIP_1) | instid1(VALU_DEP_3)
	v_mul_f64_e32 v[2:3], 0.5, v[2:3]
	s_wait_loadcnt 0x1
	v_mul_f64_e32 v[15:16], v[12:13], v[6:7]
	s_delay_alu instid0(VALU_DEP_2) | instskip(SKIP_1) | instid1(VALU_DEP_3)
	v_fma_f64 v[19:20], v[17:18], v[6:7], v[2:3]
	v_fma_f64 v[2:3], v[17:18], v[6:7], -v[2:3]
	v_fma_f64 v[6:7], v[0:1], 0.5, v[15:16]
	v_fma_f64 v[0:1], v[0:1], 0.5, -v[15:16]
	s_delay_alu instid0(VALU_DEP_4) | instskip(NEXT) | instid1(VALU_DEP_4)
	v_fma_f64 v[15:16], -v[4:5], v[12:13], v[19:20]
	v_fma_f64 v[2:3], -v[4:5], v[12:13], v[2:3]
	s_delay_alu instid0(VALU_DEP_4) | instskip(NEXT) | instid1(VALU_DEP_4)
	v_fma_f64 v[6:7], v[17:18], v[4:5], v[6:7]
	v_fma_f64 v[0:1], -v[17:18], v[4:5], v[0:1]
	v_add_nc_u32_e32 v4, 0x1800, v162
	ds_store_2addr_b64 v4, v[6:7], v[15:16] offset0:168 offset1:169
	ds_store_b128 v14, v[0:3] offset:17472
	ds_load_b128 v[0:3], v162 offset:9984
	ds_load_b128 v[4:7], v14 offset:14976
	s_wait_dscnt 0x0
	v_add_f64_e64 v[12:13], v[0:1], -v[4:5]
	v_add_f64_e32 v[15:16], v[2:3], v[6:7]
	v_add_f64_e64 v[2:3], v[2:3], -v[6:7]
	v_add_f64_e32 v[0:1], v[0:1], v[4:5]
	s_delay_alu instid0(VALU_DEP_4) | instskip(NEXT) | instid1(VALU_DEP_4)
	v_mul_f64_e32 v[6:7], 0.5, v[12:13]
	v_mul_f64_e32 v[12:13], 0.5, v[15:16]
	s_delay_alu instid0(VALU_DEP_4) | instskip(SKIP_1) | instid1(VALU_DEP_3)
	v_mul_f64_e32 v[2:3], 0.5, v[2:3]
	s_wait_loadcnt 0x0
	v_mul_f64_e32 v[4:5], v[6:7], v[10:11]
	s_delay_alu instid0(VALU_DEP_2) | instskip(SKIP_1) | instid1(VALU_DEP_3)
	v_fma_f64 v[15:16], v[12:13], v[10:11], v[2:3]
	v_fma_f64 v[2:3], v[12:13], v[10:11], -v[2:3]
	v_fma_f64 v[10:11], v[0:1], 0.5, v[4:5]
	v_fma_f64 v[0:1], v[0:1], 0.5, -v[4:5]
	s_delay_alu instid0(VALU_DEP_4) | instskip(NEXT) | instid1(VALU_DEP_4)
	v_fma_f64 v[4:5], -v[8:9], v[6:7], v[15:16]
	v_fma_f64 v[2:3], -v[8:9], v[6:7], v[2:3]
	s_delay_alu instid0(VALU_DEP_4) | instskip(NEXT) | instid1(VALU_DEP_4)
	v_fma_f64 v[6:7], v[12:13], v[8:9], v[10:11]
	v_fma_f64 v[0:1], -v[12:13], v[8:9], v[0:1]
	v_add_nc_u32_e32 v8, 0x2000, v162
	ds_store_2addr_b64 v8, v[6:7], v[4:5] offset0:224 offset1:225
	ds_store_b128 v14, v[0:3] offset:14976
	global_wb scope:SCOPE_SE
	s_wait_dscnt 0x0
	s_barrier_signal -1
	s_barrier_wait -1
	global_inv scope:SCOPE_SE
	s_and_saveexec_b32 s0, vcc_lo
	s_cbranch_execz .LBB0_26
; %bb.24:
	v_mul_lo_u32 v2, s3, v64
	v_mul_lo_u32 v3, s2, v65
	v_mad_co_u64_u32 v[0:1], null, s2, v64, 0
	v_lshl_add_u32 v28, v62, 4, 0
	v_dual_mov_b32 v63, 0 :: v_dual_add_nc_u32 v12, 0x9c, v62
	v_lshlrev_b64_e32 v[10:11], 4, v[60:61]
	v_add_nc_u32_e32 v26, 0x3a8, v62
	v_add_nc_u32_e32 v24, 0x30c, v62
	v_add3_u32 v1, v1, v3, v2
	ds_load_b128 v[2:5], v28
	ds_load_b128 v[6:9], v28 offset:2496
	v_mov_b32_e32 v13, v63
	v_lshlrev_b64_e32 v[14:15], 4, v[62:63]
	v_mov_b32_e32 v25, v63
	v_lshlrev_b64_e32 v[0:1], 4, v[0:1]
	v_mov_b32_e32 v27, v63
	s_delay_alu instid0(VALU_DEP_3) | instskip(NEXT) | instid1(VALU_DEP_3)
	v_lshlrev_b64_e32 v[24:25], 4, v[24:25]
	v_add_co_u32 v0, vcc_lo, s6, v0
	s_wait_alu 0xfffd
	s_delay_alu instid0(VALU_DEP_4) | instskip(NEXT) | instid1(VALU_DEP_2)
	v_add_co_ci_u32_e32 v1, vcc_lo, s7, v1, vcc_lo
	v_add_co_u32 v0, vcc_lo, v0, v10
	s_wait_alu 0xfffd
	s_delay_alu instid0(VALU_DEP_2) | instskip(SKIP_1) | instid1(VALU_DEP_3)
	v_add_co_ci_u32_e32 v1, vcc_lo, v1, v11, vcc_lo
	v_lshlrev_b64_e32 v[10:11], 4, v[12:13]
	v_add_co_u32 v12, vcc_lo, v0, v14
	s_wait_alu 0xfffd
	s_delay_alu instid0(VALU_DEP_3) | instskip(SKIP_1) | instid1(VALU_DEP_4)
	v_add_co_ci_u32_e32 v13, vcc_lo, v1, v15, vcc_lo
	v_add_nc_u32_e32 v14, 0x138, v62
	v_add_co_u32 v10, vcc_lo, v0, v10
	v_mov_b32_e32 v15, v63
	s_wait_alu 0xfffd
	v_add_co_ci_u32_e32 v11, vcc_lo, v1, v11, vcc_lo
	s_wait_dscnt 0x1
	global_store_b128 v[12:13], v[2:5], off
	s_wait_dscnt 0x0
	global_store_b128 v[10:11], v[6:9], off
	v_add_nc_u32_e32 v10, 0x1d4, v62
	v_lshlrev_b64_e32 v[2:3], 4, v[14:15]
	v_dual_mov_b32 v11, v63 :: v_dual_add_nc_u32 v12, 0x270, v62
	v_mov_b32_e32 v13, v63
	s_delay_alu instid0(VALU_DEP_3) | instskip(SKIP_1) | instid1(VALU_DEP_4)
	v_add_co_u32 v18, vcc_lo, v0, v2
	s_wait_alu 0xfffd
	v_add_co_ci_u32_e32 v19, vcc_lo, v1, v3, vcc_lo
	ds_load_b128 v[2:5], v28 offset:4992
	ds_load_b128 v[6:9], v28 offset:7488
	v_lshlrev_b64_e32 v[20:21], 4, v[10:11]
	v_lshlrev_b64_e32 v[22:23], 4, v[12:13]
	ds_load_b128 v[10:13], v28 offset:9984
	ds_load_b128 v[14:17], v28 offset:12480
	v_add_co_u32 v20, vcc_lo, v0, v20
	s_wait_alu 0xfffd
	v_add_co_ci_u32_e32 v21, vcc_lo, v1, v21, vcc_lo
	v_add_co_u32 v22, vcc_lo, v0, v22
	s_wait_alu 0xfffd
	v_add_co_ci_u32_e32 v23, vcc_lo, v1, v23, vcc_lo
	;; [unrolled: 3-line block ×3, first 2 shown]
	s_wait_dscnt 0x3
	global_store_b128 v[18:19], v[2:5], off
	s_wait_dscnt 0x2
	global_store_b128 v[20:21], v[6:9], off
	;; [unrolled: 2-line block ×4, first 2 shown]
	v_add_nc_u32_e32 v10, 0x444, v62
	v_lshlrev_b64_e32 v[2:3], 4, v[26:27]
	v_dual_mov_b32 v11, v63 :: v_dual_add_nc_u32 v12, 0x4e0, v62
	v_dual_mov_b32 v13, v63 :: v_dual_add_nc_u32 v24, 0x57c, v62
	v_mov_b32_e32 v25, v63
	s_delay_alu instid0(VALU_DEP_4)
	v_add_co_u32 v18, vcc_lo, v0, v2
	s_wait_alu 0xfffd
	v_add_co_ci_u32_e32 v19, vcc_lo, v1, v3, vcc_lo
	ds_load_b128 v[2:5], v28 offset:14976
	ds_load_b128 v[6:9], v28 offset:17472
	v_lshlrev_b64_e32 v[20:21], 4, v[10:11]
	v_lshlrev_b64_e32 v[22:23], 4, v[12:13]
	ds_load_b128 v[10:13], v28 offset:19968
	ds_load_b128 v[14:17], v28 offset:22464
	v_lshlrev_b64_e32 v[24:25], 4, v[24:25]
	v_add_co_u32 v20, vcc_lo, v0, v20
	s_wait_alu 0xfffd
	v_add_co_ci_u32_e32 v21, vcc_lo, v1, v21, vcc_lo
	v_add_co_u32 v22, vcc_lo, v0, v22
	s_wait_alu 0xfffd
	v_add_co_ci_u32_e32 v23, vcc_lo, v1, v23, vcc_lo
	;; [unrolled: 3-line block ×3, first 2 shown]
	v_cmp_eq_u32_e32 vcc_lo, 0x9b, v62
	s_wait_dscnt 0x3
	global_store_b128 v[18:19], v[2:5], off
	s_wait_dscnt 0x2
	global_store_b128 v[20:21], v[6:9], off
	;; [unrolled: 2-line block ×4, first 2 shown]
	s_and_b32 exec_lo, exec_lo, vcc_lo
	s_cbranch_execz .LBB0_26
; %bb.25:
	ds_load_b128 v[2:5], v63 offset:24960
	s_wait_dscnt 0x0
	global_store_b128 v[0:1], v[2:5], off offset:24960
.LBB0_26:
	s_nop 0
	s_sendmsg sendmsg(MSG_DEALLOC_VGPRS)
	s_endpgm
	.section	.rodata,"a",@progbits
	.p2align	6, 0x0
	.amdhsa_kernel fft_rtc_fwd_len1560_factors_13_2_2_10_3_wgs_156_tpt_156_dp_op_CI_CI_unitstride_sbrr_R2C_dirReg
		.amdhsa_group_segment_fixed_size 0
		.amdhsa_private_segment_fixed_size 0
		.amdhsa_kernarg_size 104
		.amdhsa_user_sgpr_count 2
		.amdhsa_user_sgpr_dispatch_ptr 0
		.amdhsa_user_sgpr_queue_ptr 0
		.amdhsa_user_sgpr_kernarg_segment_ptr 1
		.amdhsa_user_sgpr_dispatch_id 0
		.amdhsa_user_sgpr_private_segment_size 0
		.amdhsa_wavefront_size32 1
		.amdhsa_uses_dynamic_stack 0
		.amdhsa_enable_private_segment 0
		.amdhsa_system_sgpr_workgroup_id_x 1
		.amdhsa_system_sgpr_workgroup_id_y 0
		.amdhsa_system_sgpr_workgroup_id_z 0
		.amdhsa_system_sgpr_workgroup_info 0
		.amdhsa_system_vgpr_workitem_id 0
		.amdhsa_next_free_vgpr 239
		.amdhsa_next_free_sgpr 44
		.amdhsa_reserve_vcc 1
		.amdhsa_float_round_mode_32 0
		.amdhsa_float_round_mode_16_64 0
		.amdhsa_float_denorm_mode_32 3
		.amdhsa_float_denorm_mode_16_64 3
		.amdhsa_fp16_overflow 0
		.amdhsa_workgroup_processor_mode 1
		.amdhsa_memory_ordered 1
		.amdhsa_forward_progress 0
		.amdhsa_round_robin_scheduling 0
		.amdhsa_exception_fp_ieee_invalid_op 0
		.amdhsa_exception_fp_denorm_src 0
		.amdhsa_exception_fp_ieee_div_zero 0
		.amdhsa_exception_fp_ieee_overflow 0
		.amdhsa_exception_fp_ieee_underflow 0
		.amdhsa_exception_fp_ieee_inexact 0
		.amdhsa_exception_int_div_zero 0
	.end_amdhsa_kernel
	.text
.Lfunc_end0:
	.size	fft_rtc_fwd_len1560_factors_13_2_2_10_3_wgs_156_tpt_156_dp_op_CI_CI_unitstride_sbrr_R2C_dirReg, .Lfunc_end0-fft_rtc_fwd_len1560_factors_13_2_2_10_3_wgs_156_tpt_156_dp_op_CI_CI_unitstride_sbrr_R2C_dirReg
                                        ; -- End function
	.section	.AMDGPU.csdata,"",@progbits
; Kernel info:
; codeLenInByte = 11332
; NumSgprs: 46
; NumVgprs: 239
; ScratchSize: 0
; MemoryBound: 0
; FloatMode: 240
; IeeeMode: 1
; LDSByteSize: 0 bytes/workgroup (compile time only)
; SGPRBlocks: 5
; VGPRBlocks: 29
; NumSGPRsForWavesPerEU: 46
; NumVGPRsForWavesPerEU: 239
; Occupancy: 6
; WaveLimiterHint : 1
; COMPUTE_PGM_RSRC2:SCRATCH_EN: 0
; COMPUTE_PGM_RSRC2:USER_SGPR: 2
; COMPUTE_PGM_RSRC2:TRAP_HANDLER: 0
; COMPUTE_PGM_RSRC2:TGID_X_EN: 1
; COMPUTE_PGM_RSRC2:TGID_Y_EN: 0
; COMPUTE_PGM_RSRC2:TGID_Z_EN: 0
; COMPUTE_PGM_RSRC2:TIDIG_COMP_CNT: 0
	.text
	.p2alignl 7, 3214868480
	.fill 96, 4, 3214868480
	.type	__hip_cuid_f295b1b61117885f,@object ; @__hip_cuid_f295b1b61117885f
	.section	.bss,"aw",@nobits
	.globl	__hip_cuid_f295b1b61117885f
__hip_cuid_f295b1b61117885f:
	.byte	0                               ; 0x0
	.size	__hip_cuid_f295b1b61117885f, 1

	.ident	"AMD clang version 19.0.0git (https://github.com/RadeonOpenCompute/llvm-project roc-6.4.0 25133 c7fe45cf4b819c5991fe208aaa96edf142730f1d)"
	.section	".note.GNU-stack","",@progbits
	.addrsig
	.addrsig_sym __hip_cuid_f295b1b61117885f
	.amdgpu_metadata
---
amdhsa.kernels:
  - .args:
      - .actual_access:  read_only
        .address_space:  global
        .offset:         0
        .size:           8
        .value_kind:     global_buffer
      - .offset:         8
        .size:           8
        .value_kind:     by_value
      - .actual_access:  read_only
        .address_space:  global
        .offset:         16
        .size:           8
        .value_kind:     global_buffer
      - .actual_access:  read_only
        .address_space:  global
        .offset:         24
        .size:           8
        .value_kind:     global_buffer
      - .actual_access:  read_only
        .address_space:  global
        .offset:         32
        .size:           8
        .value_kind:     global_buffer
      - .offset:         40
        .size:           8
        .value_kind:     by_value
      - .actual_access:  read_only
        .address_space:  global
        .offset:         48
        .size:           8
        .value_kind:     global_buffer
      - .actual_access:  read_only
        .address_space:  global
        .offset:         56
        .size:           8
        .value_kind:     global_buffer
      - .offset:         64
        .size:           4
        .value_kind:     by_value
      - .actual_access:  read_only
        .address_space:  global
        .offset:         72
        .size:           8
        .value_kind:     global_buffer
      - .actual_access:  read_only
        .address_space:  global
        .offset:         80
        .size:           8
        .value_kind:     global_buffer
      - .actual_access:  read_only
        .address_space:  global
        .offset:         88
        .size:           8
        .value_kind:     global_buffer
      - .actual_access:  write_only
        .address_space:  global
        .offset:         96
        .size:           8
        .value_kind:     global_buffer
    .group_segment_fixed_size: 0
    .kernarg_segment_align: 8
    .kernarg_segment_size: 104
    .language:       OpenCL C
    .language_version:
      - 2
      - 0
    .max_flat_workgroup_size: 156
    .name:           fft_rtc_fwd_len1560_factors_13_2_2_10_3_wgs_156_tpt_156_dp_op_CI_CI_unitstride_sbrr_R2C_dirReg
    .private_segment_fixed_size: 0
    .sgpr_count:     46
    .sgpr_spill_count: 0
    .symbol:         fft_rtc_fwd_len1560_factors_13_2_2_10_3_wgs_156_tpt_156_dp_op_CI_CI_unitstride_sbrr_R2C_dirReg.kd
    .uniform_work_group_size: 1
    .uses_dynamic_stack: false
    .vgpr_count:     239
    .vgpr_spill_count: 0
    .wavefront_size: 32
    .workgroup_processor_mode: 1
amdhsa.target:   amdgcn-amd-amdhsa--gfx1201
amdhsa.version:
  - 1
  - 2
...

	.end_amdgpu_metadata
